;; amdgpu-corpus repo=LLNL/RAJAPerf kind=compiled arch=gfx90a opt=O3
	.text
	.amdgcn_target "amdgcn-amd-amdhsa--gfx90a"
	.amdhsa_code_object_version 6
	.section	.text._ZN8rajaperf4apps15MassVec3DPALoopILm64EEEvPdS2_S2_S2_,"axG",@progbits,_ZN8rajaperf4apps15MassVec3DPALoopILm64EEEvPdS2_S2_S2_,comdat
	.protected	_ZN8rajaperf4apps15MassVec3DPALoopILm64EEEvPdS2_S2_S2_ ; -- Begin function _ZN8rajaperf4apps15MassVec3DPALoopILm64EEEvPdS2_S2_S2_
	.globl	_ZN8rajaperf4apps15MassVec3DPALoopILm64EEEvPdS2_S2_S2_
	.p2align	8
	.type	_ZN8rajaperf4apps15MassVec3DPALoopILm64EEEvPdS2_S2_S2_,@function
_ZN8rajaperf4apps15MassVec3DPALoopILm64EEEvPdS2_S2_S2_: ; @_ZN8rajaperf4apps15MassVec3DPALoopILm64EEEvPdS2_S2_S2_
; %bb.0:
	v_bfe_u32 v8, v0, 20, 10
	v_cmp_ne_u32_e32 vcc, 0, v8
	v_bfe_u32 v10, v0, 10, 10
	s_and_saveexec_b64 s[0:1], vcc
	s_xor_b64 s[0:1], exec, s[0:1]
; %bb.1:
	v_bfe_u32 v10, v0, 10, 10
; %bb.2:
	s_or_saveexec_b64 s[2:3], s[0:1]
	s_load_dwordx8 s[16:23], s[4:5], 0x0
	s_xor_b64 exec, exec, s[2:3]
	s_cbranch_execz .LBB0_10
; %bb.3:
	v_cmp_gt_u32_e32 vcc, 3, v10
	s_and_saveexec_b64 s[8:9], vcc
	s_cbranch_execz .LBB0_9
; %bb.4:
	s_load_dword s0, s[4:5], 0x2c
	v_and_b32_e32 v2, 0x3ff, v0
	s_add_u32 s10, s4, 32
	v_lshlrev_b32_e32 v1, 5, v10
	v_lshlrev_b32_e32 v6, 3, v2
	s_addc_u32 s11, s5, 0
	s_waitcnt lgkmcnt(0)
	s_lshr_b32 s24, s0, 16
	v_add_co_u32_e64 v4, s[0:1], v1, v6
	v_addc_co_u32_e64 v5, s[0:1], 0, 0, s[0:1]
	v_mov_b32_e32 v7, s17
	v_add_co_u32_e64 v4, s[0:1], s16, v4
	v_addc_co_u32_e64 v5, s[0:1], v7, v5, s[0:1]
	s_movk_i32 s1, 0x460
	s_mov_b32 s7, 0
	v_mov_b32_e32 v11, 0
	v_add3_u32 v1, v1, v6, s1
	v_mul_u32_u24_e32 v6, 24, v2
	v_lshlrev_b32_e32 v7, 3, v10
	s_movk_i32 s1, 0x400
	v_mov_b32_e32 v3, v11
	v_cmp_gt_u32_e32 vcc, 4, v2
	s_lshl_b32 s25, s24, 5
	v_add3_u32 v9, v6, v7, s1
	s_lshl_b32 s26, s24, 3
	s_mov_b64 s[12:13], 0
	v_mov_b32_e32 v16, s7
	v_mov_b32_e32 v17, s7
	v_pk_mov_b32 v[6:7], v[10:11], v[10:11] op_sel:[0,1]
	s_branch .LBB0_6
.LBB0_5:                                ;   in Loop: Header=BB0_6 Depth=1
	s_or_b64 exec, exec, s[14:15]
	v_add_co_u32_e64 v6, s[0:1], s24, v6
	v_addc_co_u32_e64 v7, s[0:1], v7, v16, s[0:1]
	v_add_co_u32_e64 v4, s[0:1], s25, v4
	v_addc_co_u32_e64 v5, s[0:1], v5, v17, s[0:1]
	v_cmp_lt_u64_e64 s[0:1], 2, v[6:7]
	v_add_u32_e32 v1, s25, v1
	s_or_b64 s[12:13], s[0:1], s[12:13]
	v_add_u32_e32 v9, s26, v9
	s_andn2_b64 exec, exec, s[12:13]
	s_cbranch_execz .LBB0_9
.LBB0_6:                                ; =>This Loop Header: Depth=1
                                        ;     Child Loop BB0_8 Depth 2
	s_and_saveexec_b64 s[14:15], vcc
	s_cbranch_execz .LBB0_5
; %bb.7:                                ;   in Loop: Header=BB0_6 Depth=1
	s_load_dword s0, s[10:11], 0xc
	s_mov_b64 s[16:17], 0
	v_mov_b32_e32 v11, s7
	v_mov_b32_e32 v18, s7
	v_mov_b32_e32 v19, v9
	s_waitcnt lgkmcnt(0)
	s_and_b32 s27, s0, 0xffff
	s_lshl_b32 s28, s27, 3
	s_mul_i32 s29, s27, 24
	v_mov_b32_e32 v20, v1
	v_pk_mov_b32 v[12:13], v[4:5], v[4:5] op_sel:[0,1]
	v_pk_mov_b32 v[14:15], v[2:3], v[2:3] op_sel:[0,1]
.LBB0_8:                                ;   Parent Loop BB0_6 Depth=1
                                        ; =>  This Inner Loop Header: Depth=2
	global_load_dwordx2 v[22:23], v[12:13], off
	v_add_co_u32_e64 v14, s[0:1], s27, v14
	v_addc_co_u32_e64 v15, s[0:1], v15, v11, s[0:1]
	v_add_co_u32_e64 v12, s[0:1], s28, v12
	v_addc_co_u32_e64 v13, s[0:1], v13, v18, s[0:1]
	v_cmp_lt_u64_e64 s[0:1], 3, v[14:15]
	s_or_b64 s[16:17], s[0:1], s[16:17]
	s_waitcnt vmcnt(0)
	ds_write_b64 v19, v[22:23]
	ds_write_b64 v20, v[22:23]
	v_add_u32_e32 v20, s28, v20
	v_add_u32_e32 v19, s29, v19
	s_andn2_b64 exec, exec, s[16:17]
	s_cbranch_execnz .LBB0_8
	s_branch .LBB0_5
.LBB0_9:
	s_or_b64 exec, exec, s[8:9]
.LBB0_10:
	s_or_b64 exec, exec, s[2:3]
	v_and_b32_e32 v12, 0x3ff, v0
	v_mul_hi_u32_u24_e32 v1, 0x48, v8
	v_mul_u32_u24_e32 v0, 0x48, v8
	v_mov_b32_e32 v2, 0x288
	v_mad_u64_u32 v[0:1], s[24:25], s6, v2, v[0:1]
	v_mad_u64_u32 v[0:1], s[24:25], v10, 24, v[0:1]
	v_lshlrev_b32_e32 v2, 3, v12
	v_add_co_u32_e32 v3, vcc, v0, v2
	s_mov_b32 s7, 0
	s_waitcnt lgkmcnt(0)
	s_add_u32 s16, s4, 32
	v_addc_co_u32_e32 v4, vcc, 0, v1, vcc
	s_addc_u32 s17, s5, 0
	s_lshl_b64 s[4:5], s[6:7], 9
	v_mov_b32_e32 v0, s21
	v_add_co_u32_e32 v14, vcc, s20, v3
	s_movk_i32 s6, 0x60
	v_mov_b32_e32 v1, 0x400
	v_mov_b32_e32 v9, 0
	v_addc_co_u32_e32 v15, vcc, v0, v4, vcc
	v_lshlrev_b32_e32 v0, 5, v10
	v_mad_u32_u24 v33, v8, s6, v2
	s_movk_i32 s6, 0x200
	v_mad_u32_u24 v35, v12, 24, v1
	v_lshlrev_b32_e32 v1, 7, v8
	v_mov_b32_e32 v11, v9
	v_add3_u32 v34, v33, v0, s6
	v_add_u32_e32 v36, v0, v2
	v_mov_b32_e32 v0, s5
	v_add_co_u32_e32 v7, vcc, s4, v1
	v_add_u32_e32 v37, v36, v1
	v_addc_co_u32_e32 v16, vcc, 0, v0, vcc
	v_lshlrev_b64 v[0:1], 5, v[10:11]
	v_add_co_u32_e32 v0, vcc, v7, v0
	v_addc_co_u32_e32 v1, vcc, v16, v1, vcc
	v_add_co_u32_e32 v0, vcc, v0, v2
	v_mul_lo_u32 v5, v10, 24
	v_addc_co_u32_e32 v1, vcc, 0, v1, vcc
	v_add_u32_e32 v6, v5, v2
	v_mov_b32_e32 v2, s19
	v_add_co_u32_e32 v16, vcc, s18, v0
	s_movk_i32 s33, 0x48
	v_addc_co_u32_e32 v17, vcc, v2, v1, vcc
	v_mad_u32_u24 v32, v8, s33, v6
	v_mov_b32_e32 v41, 0x460
	v_mov_b32_e32 v0, s23
	v_add_co_u32_e32 v18, vcc, s22, v3
	v_cmp_gt_u32_e64 s[0:1], 3, v8
	v_cmp_gt_u32_e64 s[2:3], 4, v8
	;; [unrolled: 1-line block ×3, first 2 shown]
	v_mov_b32_e32 v13, v9
	v_cmp_gt_u32_e64 s[8:9], 3, v12
	v_cmp_gt_u32_e64 s[10:11], 4, v12
	;; [unrolled: 1-line block ×3, first 2 shown]
	v_add_u32_e32 v38, 0x200, v33
	v_add_u32_e32 v39, 0x200, v37
	;; [unrolled: 1-line block ×3, first 2 shown]
	v_lshl_add_u32 v42, v12, 5, v41
	v_add_u32_e32 v43, 0x200, v32
	v_addc_co_u32_e32 v19, vcc, v0, v4, vcc
	v_add_u32_e32 v44, 0x200, v6
	s_mov_b64 s[18:19], 0
	s_branch .LBB0_12
.LBB0_11:                               ;   in Loop: Header=BB0_12 Depth=1
	s_or_b64 exec, exec, s[4:5]
	v_add_co_u32_e32 v14, vcc, 0xd8, v14
	s_add_u32 s18, s18, 1
	v_addc_co_u32_e32 v15, vcc, 0, v15, vcc
	s_addc_u32 s19, s19, 0
	v_add_co_u32_e32 v18, vcc, 0xd8, v18
	s_cmp_eq_u64 s[18:19], 3
	v_addc_co_u32_e32 v19, vcc, 0, v19, vcc
	s_waitcnt lgkmcnt(0)
	; wave barrier
	s_cbranch_scc1 .LBB0_75
.LBB0_12:                               ; =>This Loop Header: Depth=1
                                        ;     Child Loop BB0_15 Depth 2
                                        ;       Child Loop BB0_18 Depth 3
                                        ;         Child Loop BB0_20 Depth 4
                                        ;     Child Loop BB0_24 Depth 2
                                        ;       Child Loop BB0_27 Depth 3
                                        ;         Child Loop BB0_29 Depth 4
	;; [unrolled: 3-line block ×7, first 2 shown]
	s_and_saveexec_b64 s[4:5], s[0:1]
	s_cbranch_execz .LBB0_21
; %bb.13:                               ;   in Loop: Header=BB0_12 Depth=1
	s_load_dword s22, s[16:17], 0x10
	s_mov_b32 s6, s7
	s_mov_b32 s30, s7
	s_mov_b64 s[20:21], 0
	v_mov_b32_e32 v24, v32
	s_waitcnt lgkmcnt(0)
	s_and_b32 s31, s22, 0xffff
	s_mul_i32 s34, s31, 0x48
	v_pk_mov_b32 v[0:1], v[14:15], v[14:15] op_sel:[0,1]
	v_pk_mov_b32 v[2:3], v[8:9], v[8:9] op_sel:[0,1]
	s_branch .LBB0_15
.LBB0_14:                               ;   in Loop: Header=BB0_15 Depth=2
	s_or_b64 exec, exec, s[22:23]
	v_mov_b32_e32 v4, s6
	v_add_co_u32_e32 v2, vcc, s31, v2
	v_addc_co_u32_e32 v3, vcc, v3, v4, vcc
	v_mov_b32_e32 v4, s30
	v_add_co_u32_e32 v0, vcc, s34, v0
	v_addc_co_u32_e32 v1, vcc, v1, v4, vcc
	v_cmp_lt_u64_e32 vcc, 2, v[2:3]
	s_or_b64 s[20:21], vcc, s[20:21]
	v_add_u32_e32 v24, s34, v24
	s_andn2_b64 exec, exec, s[20:21]
	s_cbranch_execz .LBB0_21
.LBB0_15:                               ;   Parent Loop BB0_12 Depth=1
                                        ; =>  This Loop Header: Depth=2
                                        ;       Child Loop BB0_18 Depth 3
                                        ;         Child Loop BB0_20 Depth 4
	s_and_saveexec_b64 s[22:23], s[14:15]
	s_cbranch_execz .LBB0_14
; %bb.16:                               ;   in Loop: Header=BB0_15 Depth=2
	s_load_dword s26, s[16:17], 0xc
	s_mov_b32 s35, s7
	s_mov_b32 s36, s7
	s_mov_b64 s[24:25], 0
	v_mov_b32_e32 v25, v24
	s_waitcnt lgkmcnt(0)
	s_lshr_b32 s37, s26, 16
	s_mul_i32 s38, s37, 24
	v_pk_mov_b32 v[4:5], v[0:1], v[0:1] op_sel:[0,1]
	v_pk_mov_b32 v[6:7], v[10:11], v[10:11] op_sel:[0,1]
	s_branch .LBB0_18
.LBB0_17:                               ;   in Loop: Header=BB0_18 Depth=3
	s_or_b64 exec, exec, s[26:27]
	v_mov_b32_e32 v20, s35
	v_add_co_u32_e32 v6, vcc, s37, v6
	v_addc_co_u32_e32 v7, vcc, v7, v20, vcc
	v_mov_b32_e32 v20, s36
	v_add_co_u32_e32 v4, vcc, s38, v4
	v_addc_co_u32_e32 v5, vcc, v5, v20, vcc
	v_cmp_lt_u64_e32 vcc, 2, v[6:7]
	s_or_b64 s[24:25], vcc, s[24:25]
	v_add_u32_e32 v25, s38, v25
	s_andn2_b64 exec, exec, s[24:25]
	s_cbranch_execz .LBB0_14
.LBB0_18:                               ;   Parent Loop BB0_12 Depth=1
                                        ;     Parent Loop BB0_15 Depth=2
                                        ; =>    This Loop Header: Depth=3
                                        ;         Child Loop BB0_20 Depth 4
	s_and_saveexec_b64 s[26:27], s[8:9]
	s_cbranch_execz .LBB0_17
; %bb.19:                               ;   in Loop: Header=BB0_18 Depth=3
	s_load_dword s39, s[16:17], 0xc
	s_mov_b64 s[28:29], 0
	v_mov_b32_e32 v26, s7
	v_mov_b32_e32 v27, s7
	;; [unrolled: 1-line block ×3, first 2 shown]
	s_waitcnt lgkmcnt(0)
	s_and_b32 s39, s39, 0xffff
	s_lshl_b32 s40, s39, 3
	v_pk_mov_b32 v[20:21], v[4:5], v[4:5] op_sel:[0,1]
	v_pk_mov_b32 v[22:23], v[12:13], v[12:13] op_sel:[0,1]
.LBB0_20:                               ;   Parent Loop BB0_12 Depth=1
                                        ;     Parent Loop BB0_15 Depth=2
                                        ;       Parent Loop BB0_18 Depth=3
                                        ; =>      This Inner Loop Header: Depth=4
	global_load_dwordx2 v[30:31], v[20:21], off
	v_add_co_u32_e32 v22, vcc, s39, v22
	v_addc_co_u32_e32 v23, vcc, v23, v26, vcc
	v_add_co_u32_e32 v20, vcc, s40, v20
	v_addc_co_u32_e32 v21, vcc, v21, v27, vcc
	v_cmp_lt_u64_e32 vcc, 2, v[22:23]
	s_or_b64 s[28:29], vcc, s[28:29]
	s_waitcnt vmcnt(0)
	ds_write_b64 v28, v[30:31]
	v_add_u32_e32 v28, s40, v28
	s_andn2_b64 exec, exec, s[28:29]
	s_cbranch_execnz .LBB0_20
	s_branch .LBB0_17
.LBB0_21:                               ;   in Loop: Header=BB0_12 Depth=1
	s_or_b64 exec, exec, s[4:5]
	s_waitcnt lgkmcnt(0)
	; wave barrier
	s_waitcnt lgkmcnt(0)
	s_and_saveexec_b64 s[4:5], s[0:1]
	s_cbranch_execz .LBB0_30
; %bb.22:                               ;   in Loop: Header=BB0_12 Depth=1
	s_load_dword s22, s[16:17], 0x10
	s_mov_b32 s6, s7
	s_mov_b64 s[20:21], 0
	v_mov_b32_e32 v24, v34
	v_pk_mov_b32 v[4:5], v[8:9], v[8:9] op_sel:[0,1]
	s_waitcnt lgkmcnt(0)
	s_and_b32 s30, s22, 0xffff
	s_mul_i32 s31, s30, 0x60
	s_branch .LBB0_24
.LBB0_23:                               ;   in Loop: Header=BB0_24 Depth=2
	s_or_b64 exec, exec, s[22:23]
	v_mov_b32_e32 v0, s6
	v_add_co_u32_e32 v4, vcc, s30, v4
	v_addc_co_u32_e32 v5, vcc, v5, v0, vcc
	v_cmp_lt_u64_e32 vcc, 2, v[4:5]
	s_or_b64 s[20:21], vcc, s[20:21]
	v_add_u32_e32 v24, s31, v24
	s_andn2_b64 exec, exec, s[20:21]
	s_cbranch_execz .LBB0_30
.LBB0_24:                               ;   Parent Loop BB0_12 Depth=1
                                        ; =>  This Loop Header: Depth=2
                                        ;       Child Loop BB0_27 Depth 3
                                        ;         Child Loop BB0_29 Depth 4
	s_and_saveexec_b64 s[22:23], s[14:15]
	s_cbranch_execz .LBB0_23
; %bb.25:                               ;   in Loop: Header=BB0_24 Depth=2
	s_load_dword s26, s[16:17], 0xc
	s_mov_b32 s34, s7
	s_mov_b64 s[24:25], 0
	v_mov_b32_e32 v25, v24
	v_pk_mov_b32 v[6:7], v[10:11], v[10:11] op_sel:[0,1]
	s_waitcnt lgkmcnt(0)
	s_lshr_b32 s35, s26, 16
	s_lshl_b32 s36, s35, 5
	s_branch .LBB0_27
.LBB0_26:                               ;   in Loop: Header=BB0_27 Depth=3
	s_or_b64 exec, exec, s[26:27]
	v_mov_b32_e32 v0, s34
	v_add_co_u32_e32 v6, vcc, s35, v6
	v_addc_co_u32_e32 v7, vcc, v7, v0, vcc
	v_cmp_lt_u64_e32 vcc, 2, v[6:7]
	s_or_b64 s[24:25], vcc, s[24:25]
	v_add_u32_e32 v25, s36, v25
	s_andn2_b64 exec, exec, s[24:25]
	s_cbranch_execz .LBB0_23
.LBB0_27:                               ;   Parent Loop BB0_12 Depth=1
                                        ;     Parent Loop BB0_24 Depth=2
                                        ; =>    This Loop Header: Depth=3
                                        ;         Child Loop BB0_29 Depth 4
	s_and_saveexec_b64 s[26:27], s[10:11]
	s_cbranch_execz .LBB0_26
; %bb.28:                               ;   in Loop: Header=BB0_27 Depth=3
	s_load_dword s37, s[16:17], 0xc
	v_mul_lo_u32 v0, v6, 24
	v_mad_u64_u32 v[20:21], s[28:29], v4, s33, v[0:1]
	ds_read2_b64 v[0:3], v20 offset1:1
	ds_read_b64 v[20:21], v20 offset:16
	s_waitcnt lgkmcnt(0)
	s_and_b32 s37, s37, 0xffff
	s_lshl_b32 s38, s37, 3
	s_mul_i32 s39, s37, 24
	s_mov_b64 s[28:29], 0
	v_mov_b32_e32 v26, v35
	v_mov_b32_e32 v27, v25
	v_pk_mov_b32 v[22:23], v[12:13], v[12:13] op_sel:[0,1]
.LBB0_29:                               ;   Parent Loop BB0_12 Depth=1
                                        ;     Parent Loop BB0_24 Depth=2
                                        ;       Parent Loop BB0_27 Depth=3
                                        ; =>      This Inner Loop Header: Depth=4
	ds_read2_b64 v[28:31], v26 offset1:1
	ds_read_b64 v[46:47], v26 offset:16
	v_mov_b32_e32 v45, s7
	v_add_co_u32_e32 v22, vcc, s37, v22
	s_waitcnt lgkmcnt(1)
	v_fma_f64 v[28:29], v[0:1], v[28:29], 0
	v_addc_co_u32_e32 v23, vcc, v23, v45, vcc
	v_fmac_f64_e32 v[28:29], v[2:3], v[30:31]
	v_cmp_lt_u64_e32 vcc, 3, v[22:23]
	s_waitcnt lgkmcnt(0)
	v_fmac_f64_e32 v[28:29], v[20:21], v[46:47]
	v_add_u32_e32 v26, s39, v26
	s_or_b64 s[28:29], vcc, s[28:29]
	ds_write_b64 v27, v[28:29]
	v_add_u32_e32 v27, s38, v27
	s_andn2_b64 exec, exec, s[28:29]
	s_cbranch_execnz .LBB0_29
	s_branch .LBB0_26
.LBB0_30:                               ;   in Loop: Header=BB0_12 Depth=1
	s_or_b64 exec, exec, s[4:5]
	s_waitcnt lgkmcnt(0)
	; wave barrier
	s_waitcnt lgkmcnt(0)
	s_and_saveexec_b64 s[4:5], s[0:1]
	s_cbranch_execz .LBB0_39
; %bb.31:                               ;   in Loop: Header=BB0_12 Depth=1
	s_load_dword s22, s[16:17], 0x10
	s_mov_b32 s6, s7
	s_mov_b64 s[20:21], 0
	v_mov_b32_e32 v24, v38
	v_mov_b32_e32 v25, v37
	s_waitcnt lgkmcnt(0)
	s_and_b32 s30, s22, 0xffff
	s_lshl_b32 s31, s30, 7
	s_mul_i32 s34, s30, 0x60
	v_pk_mov_b32 v[4:5], v[8:9], v[8:9] op_sel:[0,1]
	s_branch .LBB0_33
.LBB0_32:                               ;   in Loop: Header=BB0_33 Depth=2
	s_or_b64 exec, exec, s[22:23]
	v_mov_b32_e32 v0, s6
	v_add_co_u32_e32 v4, vcc, s30, v4
	v_addc_co_u32_e32 v5, vcc, v5, v0, vcc
	v_cmp_lt_u64_e32 vcc, 2, v[4:5]
	v_add_u32_e32 v25, s31, v25
	s_or_b64 s[20:21], vcc, s[20:21]
	v_add_u32_e32 v24, s34, v24
	s_andn2_b64 exec, exec, s[20:21]
	s_cbranch_execz .LBB0_39
.LBB0_33:                               ;   Parent Loop BB0_12 Depth=1
                                        ; =>  This Loop Header: Depth=2
                                        ;       Child Loop BB0_36 Depth 3
                                        ;         Child Loop BB0_38 Depth 4
	s_and_saveexec_b64 s[22:23], s[12:13]
	s_cbranch_execz .LBB0_32
; %bb.34:                               ;   in Loop: Header=BB0_33 Depth=2
	s_load_dword s26, s[16:17], 0xc
	s_mov_b32 s35, s7
	s_mov_b64 s[24:25], 0
	v_mov_b32_e32 v26, v25
	v_pk_mov_b32 v[6:7], v[10:11], v[10:11] op_sel:[0,1]
	s_waitcnt lgkmcnt(0)
	s_lshr_b32 s36, s26, 16
	s_lshl_b32 s37, s36, 5
	s_branch .LBB0_36
.LBB0_35:                               ;   in Loop: Header=BB0_36 Depth=3
	s_or_b64 exec, exec, s[26:27]
	v_mov_b32_e32 v0, s35
	v_add_co_u32_e32 v6, vcc, s36, v6
	v_addc_co_u32_e32 v7, vcc, v7, v0, vcc
	v_cmp_lt_u64_e32 vcc, 3, v[6:7]
	s_or_b64 s[24:25], vcc, s[24:25]
	v_add_u32_e32 v26, s37, v26
	s_andn2_b64 exec, exec, s[24:25]
	s_cbranch_execz .LBB0_32
.LBB0_36:                               ;   Parent Loop BB0_12 Depth=1
                                        ;     Parent Loop BB0_33 Depth=2
                                        ; =>    This Loop Header: Depth=3
                                        ;         Child Loop BB0_38 Depth 4
	s_and_saveexec_b64 s[26:27], s[10:11]
	s_cbranch_execz .LBB0_35
; %bb.37:                               ;   in Loop: Header=BB0_36 Depth=3
	s_load_dword s28, s[16:17], 0xc
	v_mul_lo_u32 v20, v6, 24
	ds_read2_b64 v[0:3], v20 offset0:128 offset1:129
	ds_read_b64 v[20:21], v20 offset:1040
	s_mov_b32 s38, 0
	v_pk_mov_b32 v[22:23], v[12:13], v[12:13] op_sel:[0,1]
	s_waitcnt lgkmcnt(0)
	s_and_b32 s39, s28, 0xffff
	s_lshl_b32 s40, s39, 3
	s_mov_b64 s[28:29], 0
.LBB0_38:                               ;   Parent Loop BB0_12 Depth=1
                                        ;     Parent Loop BB0_33 Depth=2
                                        ;       Parent Loop BB0_36 Depth=3
                                        ; =>      This Inner Loop Header: Depth=4
	v_add_u32_e32 v27, s38, v24
	ds_read2_b64 v[28:31], v27 offset1:4
	ds_read_b64 v[46:47], v27 offset:64
	v_mov_b32_e32 v48, s7
	v_add_co_u32_e32 v22, vcc, s39, v22
	v_addc_co_u32_e32 v23, vcc, v23, v48, vcc
	s_waitcnt lgkmcnt(1)
	v_fma_f64 v[28:29], v[28:29], v[0:1], 0
	v_add_u32_e32 v45, s38, v26
	s_add_i32 s38, s38, s40
	v_cmp_lt_u64_e32 vcc, 3, v[22:23]
	v_fmac_f64_e32 v[28:29], v[30:31], v[2:3]
	s_or_b64 s[28:29], vcc, s[28:29]
	s_waitcnt lgkmcnt(0)
	v_fmac_f64_e32 v[28:29], v[46:47], v[20:21]
	ds_write_b64 v45, v[28:29]
	s_andn2_b64 exec, exec, s[28:29]
	s_cbranch_execnz .LBB0_38
	s_branch .LBB0_35
.LBB0_39:                               ;   in Loop: Header=BB0_12 Depth=1
	s_or_b64 exec, exec, s[4:5]
	s_waitcnt lgkmcnt(0)
	; wave barrier
	s_waitcnt lgkmcnt(0)
	s_and_saveexec_b64 s[20:21], s[2:3]
	s_cbranch_execz .LBB0_48
; %bb.40:                               ;   in Loop: Header=BB0_12 Depth=1
	s_load_dword s4, s[16:17], 0x10
	s_mov_b32 s6, s7
	s_mov_b32 s34, s7
	s_mov_b64 s[22:23], 0
	v_mov_b32_e32 v45, v39
	s_waitcnt lgkmcnt(0)
	s_and_b32 s35, s4, 0xffff
	s_lshl_b32 s36, s35, 7
	v_pk_mov_b32 v[4:5], v[16:17], v[16:17] op_sel:[0,1]
	v_pk_mov_b32 v[6:7], v[8:9], v[8:9] op_sel:[0,1]
	s_branch .LBB0_42
.LBB0_41:                               ;   in Loop: Header=BB0_42 Depth=2
	s_or_b64 exec, exec, s[24:25]
	v_mov_b32_e32 v0, s6
	v_add_co_u32_e32 v6, vcc, s35, v6
	v_addc_co_u32_e32 v7, vcc, v7, v0, vcc
	v_mov_b32_e32 v0, s34
	v_add_co_u32_e32 v4, vcc, s36, v4
	v_addc_co_u32_e32 v5, vcc, v5, v0, vcc
	v_cmp_lt_u64_e32 vcc, 3, v[6:7]
	s_or_b64 s[22:23], vcc, s[22:23]
	v_add_u32_e32 v45, s36, v45
	s_andn2_b64 exec, exec, s[22:23]
	s_cbranch_execz .LBB0_48
.LBB0_42:                               ;   Parent Loop BB0_12 Depth=1
                                        ; =>  This Loop Header: Depth=2
                                        ;       Child Loop BB0_45 Depth 3
                                        ;         Child Loop BB0_47 Depth 4
	s_and_saveexec_b64 s[24:25], s[12:13]
	s_cbranch_execz .LBB0_41
; %bb.43:                               ;   in Loop: Header=BB0_42 Depth=2
	s_load_dword s26, s[16:17], 0xc
	v_mov_b32_e32 v0, 0x400
	v_mov_b32_e32 v1, 0
	v_mad_u64_u32 v[20:21], s[4:5], v6, 24, v[0:1]
	s_waitcnt lgkmcnt(0)
	s_lshr_b32 s38, s26, 16
	s_mov_b32 s37, s7
	s_lshl_b32 s39, s38, 5
	s_mov_b32 s40, s7
	s_mov_b64 s[26:27], 0
	v_mov_b32_e32 v21, v36
	v_mov_b32_e32 v46, v45
	v_pk_mov_b32 v[22:23], v[4:5], v[4:5] op_sel:[0,1]
	v_pk_mov_b32 v[24:25], v[10:11], v[10:11] op_sel:[0,1]
	s_branch .LBB0_45
.LBB0_44:                               ;   in Loop: Header=BB0_45 Depth=3
	s_or_b64 exec, exec, s[28:29]
	v_mov_b32_e32 v0, s37
	v_add_co_u32_e32 v24, vcc, s38, v24
	v_addc_co_u32_e32 v25, vcc, v25, v0, vcc
	v_mov_b32_e32 v0, s40
	v_add_co_u32_e32 v22, vcc, s39, v22
	v_addc_co_u32_e32 v23, vcc, v23, v0, vcc
	v_cmp_lt_u64_e32 vcc, 3, v[24:25]
	v_add_u32_e32 v46, s39, v46
	s_or_b64 s[26:27], vcc, s[26:27]
	v_add_u32_e32 v21, s39, v21
	s_andn2_b64 exec, exec, s[26:27]
	s_cbranch_execz .LBB0_41
.LBB0_45:                               ;   Parent Loop BB0_12 Depth=1
                                        ;     Parent Loop BB0_42 Depth=2
                                        ; =>    This Loop Header: Depth=3
                                        ;         Child Loop BB0_47 Depth 4
	s_and_saveexec_b64 s[28:29], s[10:11]
	s_cbranch_execz .LBB0_44
; %bb.46:                               ;   in Loop: Header=BB0_45 Depth=3
	s_load_dword s4, s[16:17], 0xc
	ds_read2_b64 v[0:3], v20 offset1:1
	ds_read_b64 v[26:27], v20 offset:16
	s_mov_b32 s41, s7
	s_mov_b32 s42, 0
	s_mov_b64 s[30:31], 0
	s_waitcnt lgkmcnt(0)
	s_and_b32 s43, s4, 0xffff
	s_lshl_b32 s44, s43, 3
	v_pk_mov_b32 v[28:29], v[22:23], v[22:23] op_sel:[0,1]
	v_pk_mov_b32 v[30:31], v[12:13], v[12:13] op_sel:[0,1]
.LBB0_47:                               ;   Parent Loop BB0_12 Depth=1
                                        ;     Parent Loop BB0_42 Depth=2
                                        ;       Parent Loop BB0_45 Depth=3
                                        ; =>      This Inner Loop Header: Depth=4
	global_load_dwordx2 v[52:53], v[28:29], off
	v_add_u32_e32 v47, s42, v21
	ds_read2_b64 v[48:51], v47 offset1:16
	ds_read_b64 v[54:55], v47 offset:256
	v_mov_b32_e32 v57, s7
	v_mov_b32_e32 v58, s41
	v_add_co_u32_e32 v28, vcc, s44, v28
	v_add_co_u32_e64 v30, s[4:5], s43, v30
	s_waitcnt lgkmcnt(1)
	v_fma_f64 v[48:49], v[48:49], v[0:1], 0
	v_addc_co_u32_e64 v31, s[4:5], v31, v57, s[4:5]
	v_addc_co_u32_e32 v29, vcc, v29, v58, vcc
	v_fmac_f64_e32 v[48:49], v[50:51], v[2:3]
	v_add_u32_e32 v56, s42, v46
	s_add_i32 s42, s42, s44
	v_cmp_lt_u64_e32 vcc, 3, v[30:31]
	s_waitcnt lgkmcnt(0)
	v_fmac_f64_e32 v[48:49], v[54:55], v[26:27]
	s_or_b64 s[30:31], vcc, s[30:31]
	s_waitcnt vmcnt(0)
	v_mul_f64 v[48:49], v[48:49], v[52:53]
	ds_write_b64 v56, v[48:49]
	s_andn2_b64 exec, exec, s[30:31]
	s_cbranch_execnz .LBB0_47
	s_branch .LBB0_44
.LBB0_48:                               ;   in Loop: Header=BB0_12 Depth=1
	s_or_b64 exec, exec, s[20:21]
	s_waitcnt lgkmcnt(0)
	; wave barrier
	s_waitcnt lgkmcnt(0)
	s_and_saveexec_b64 s[4:5], s[2:3]
	s_cbranch_execz .LBB0_57
; %bb.49:                               ;   in Loop: Header=BB0_12 Depth=1
	s_load_dword s22, s[16:17], 0x10
	s_mov_b32 s6, s7
	s_mov_b64 s[20:21], 0
	v_mov_b32_e32 v26, v40
	v_pk_mov_b32 v[20:21], v[8:9], v[8:9] op_sel:[0,1]
	s_waitcnt lgkmcnt(0)
	s_and_b32 s30, s22, 0xffff
	s_mul_i32 s31, s30, 0x60
	s_branch .LBB0_51
.LBB0_50:                               ;   in Loop: Header=BB0_51 Depth=2
	s_or_b64 exec, exec, s[22:23]
	v_mov_b32_e32 v0, s6
	v_add_co_u32_e32 v20, vcc, s30, v20
	v_addc_co_u32_e32 v21, vcc, v21, v0, vcc
	v_cmp_lt_u64_e32 vcc, 3, v[20:21]
	s_or_b64 s[20:21], vcc, s[20:21]
	v_add_u32_e32 v26, s31, v26
	s_andn2_b64 exec, exec, s[20:21]
	s_cbranch_execz .LBB0_57
.LBB0_51:                               ;   Parent Loop BB0_12 Depth=1
                                        ; =>  This Loop Header: Depth=2
                                        ;       Child Loop BB0_54 Depth 3
                                        ;         Child Loop BB0_56 Depth 4
	s_and_saveexec_b64 s[22:23], s[12:13]
	s_cbranch_execz .LBB0_50
; %bb.52:                               ;   in Loop: Header=BB0_51 Depth=2
	s_load_dword s26, s[16:17], 0xc
	s_mov_b32 s34, s7
	s_mov_b64 s[24:25], 0
	v_mov_b32_e32 v27, v26
	v_pk_mov_b32 v[22:23], v[10:11], v[10:11] op_sel:[0,1]
	s_waitcnt lgkmcnt(0)
	s_lshr_b32 s35, s26, 16
	s_mul_i32 s36, s35, 24
	s_branch .LBB0_54
.LBB0_53:                               ;   in Loop: Header=BB0_54 Depth=3
	s_or_b64 exec, exec, s[26:27]
	v_mov_b32_e32 v0, s34
	v_add_co_u32_e32 v22, vcc, s35, v22
	v_addc_co_u32_e32 v23, vcc, v23, v0, vcc
	v_cmp_lt_u64_e32 vcc, 3, v[22:23]
	s_or_b64 s[24:25], vcc, s[24:25]
	v_add_u32_e32 v27, s36, v27
	s_andn2_b64 exec, exec, s[24:25]
	s_cbranch_execz .LBB0_50
.LBB0_54:                               ;   Parent Loop BB0_12 Depth=1
                                        ;     Parent Loop BB0_51 Depth=2
                                        ; =>    This Loop Header: Depth=3
                                        ;         Child Loop BB0_56 Depth 4
	s_and_saveexec_b64 s[26:27], s[8:9]
	s_cbranch_execz .LBB0_53
; %bb.55:                               ;   in Loop: Header=BB0_54 Depth=3
	s_load_dword s28, s[16:17], 0xc
	v_lshlrev_b32_e32 v0, 5, v22
	v_lshl_add_u32 v4, v20, 7, v0
	ds_read_b128 v[0:3], v4 offset:512
	ds_read_b128 v[4:7], v4 offset:528
	v_mov_b32_e32 v28, v42
	s_waitcnt lgkmcnt(0)
	s_and_b32 s37, s28, 0xffff
	s_lshl_b32 s38, s37, 3
	s_lshl_b32 s39, s37, 5
	s_mov_b64 s[28:29], 0
	v_mov_b32_e32 v29, v27
	v_pk_mov_b32 v[24:25], v[12:13], v[12:13] op_sel:[0,1]
.LBB0_56:                               ;   Parent Loop BB0_12 Depth=1
                                        ;     Parent Loop BB0_51 Depth=2
                                        ;       Parent Loop BB0_54 Depth=3
                                        ; =>      This Inner Loop Header: Depth=4
	ds_read_b128 v[46:49], v28
	ds_read_b128 v[50:53], v28 offset:16
	v_mov_b32_e32 v30, s7
	v_add_co_u32_e32 v24, vcc, s37, v24
	v_addc_co_u32_e32 v25, vcc, v25, v30, vcc
	s_waitcnt lgkmcnt(1)
	v_fma_f64 v[30:31], v[0:1], v[46:47], 0
	v_fmac_f64_e32 v[30:31], v[2:3], v[48:49]
	s_waitcnt lgkmcnt(0)
	v_fmac_f64_e32 v[30:31], v[4:5], v[50:51]
	v_cmp_lt_u64_e32 vcc, 2, v[24:25]
	v_fmac_f64_e32 v[30:31], v[6:7], v[52:53]
	v_add_u32_e32 v28, s39, v28
	s_or_b64 s[28:29], vcc, s[28:29]
	ds_write_b64 v29, v[30:31]
	v_add_u32_e32 v29, s38, v29
	s_andn2_b64 exec, exec, s[28:29]
	s_cbranch_execnz .LBB0_56
	s_branch .LBB0_53
.LBB0_57:                               ;   in Loop: Header=BB0_12 Depth=1
	s_or_b64 exec, exec, s[4:5]
	s_waitcnt lgkmcnt(0)
	; wave barrier
	s_waitcnt lgkmcnt(0)
	s_and_saveexec_b64 s[4:5], s[2:3]
	s_cbranch_execz .LBB0_66
; %bb.58:                               ;   in Loop: Header=BB0_12 Depth=1
	s_load_dword s22, s[16:17], 0x10
	s_mov_b32 s6, s7
	s_mov_b64 s[20:21], 0
	v_mov_b32_e32 v26, v33
	v_mov_b32_e32 v27, v43
	s_waitcnt lgkmcnt(0)
	s_and_b32 s30, s22, 0xffff
	s_mul_i32 s31, s30, 0x48
	s_mul_i32 s34, s30, 0x60
	v_pk_mov_b32 v[20:21], v[8:9], v[8:9] op_sel:[0,1]
	s_branch .LBB0_60
.LBB0_59:                               ;   in Loop: Header=BB0_60 Depth=2
	s_or_b64 exec, exec, s[22:23]
	v_mov_b32_e32 v0, s6
	v_add_co_u32_e32 v20, vcc, s30, v20
	v_addc_co_u32_e32 v21, vcc, v21, v0, vcc
	v_cmp_lt_u64_e32 vcc, 3, v[20:21]
	v_add_u32_e32 v27, s31, v27
	s_or_b64 s[20:21], vcc, s[20:21]
	v_add_u32_e32 v26, s34, v26
	s_andn2_b64 exec, exec, s[20:21]
	s_cbranch_execz .LBB0_66
.LBB0_60:                               ;   Parent Loop BB0_12 Depth=1
                                        ; =>  This Loop Header: Depth=2
                                        ;       Child Loop BB0_63 Depth 3
                                        ;         Child Loop BB0_65 Depth 4
	s_and_saveexec_b64 s[22:23], s[14:15]
	s_cbranch_execz .LBB0_59
; %bb.61:                               ;   in Loop: Header=BB0_60 Depth=2
	s_load_dword s26, s[16:17], 0xc
	s_mov_b32 s35, s7
	s_mov_b64 s[24:25], 0
	v_mov_b32_e32 v28, v27
	v_pk_mov_b32 v[22:23], v[10:11], v[10:11] op_sel:[0,1]
	s_waitcnt lgkmcnt(0)
	s_lshr_b32 s36, s26, 16
	s_mul_i32 s37, s36, 24
	s_branch .LBB0_63
.LBB0_62:                               ;   in Loop: Header=BB0_63 Depth=3
	s_or_b64 exec, exec, s[26:27]
	v_mov_b32_e32 v0, s35
	v_add_co_u32_e32 v22, vcc, s36, v22
	v_addc_co_u32_e32 v23, vcc, v23, v0, vcc
	v_cmp_lt_u64_e32 vcc, 2, v[22:23]
	s_or_b64 s[24:25], vcc, s[24:25]
	v_add_u32_e32 v28, s37, v28
	s_andn2_b64 exec, exec, s[24:25]
	s_cbranch_execz .LBB0_59
.LBB0_63:                               ;   Parent Loop BB0_12 Depth=1
                                        ;     Parent Loop BB0_60 Depth=2
                                        ; =>    This Loop Header: Depth=3
                                        ;         Child Loop BB0_65 Depth 4
	s_and_saveexec_b64 s[26:27], s[8:9]
	s_cbranch_execz .LBB0_62
; %bb.64:                               ;   in Loop: Header=BB0_63 Depth=3
	s_load_dword s28, s[16:17], 0xc
	v_lshlrev_b32_e32 v4, 5, v22
	ds_read_b128 v[0:3], v4 offset:1120
	ds_read_b128 v[4:7], v4 offset:1136
	s_mov_b32 s38, 0
	v_pk_mov_b32 v[24:25], v[12:13], v[12:13] op_sel:[0,1]
	s_waitcnt lgkmcnt(0)
	s_and_b32 s39, s28, 0xffff
	s_lshl_b32 s40, s39, 3
	s_mov_b64 s[28:29], 0
.LBB0_65:                               ;   Parent Loop BB0_12 Depth=1
                                        ;     Parent Loop BB0_60 Depth=2
                                        ;       Parent Loop BB0_63 Depth=3
                                        ; =>      This Inner Loop Header: Depth=4
	v_add_u32_e32 v29, s38, v26
	ds_read2_b64 v[46:49], v29 offset1:3
	ds_read2_b64 v[50:53], v29 offset0:6 offset1:9
	v_mov_b32_e32 v30, s7
	v_add_co_u32_e32 v24, vcc, s39, v24
	v_addc_co_u32_e32 v25, vcc, v25, v30, vcc
	s_waitcnt lgkmcnt(1)
	v_fma_f64 v[30:31], v[46:47], v[0:1], 0
	v_fmac_f64_e32 v[30:31], v[48:49], v[2:3]
	v_add_u32_e32 v45, s38, v28
	s_add_i32 s38, s38, s40
	v_cmp_lt_u64_e32 vcc, 2, v[24:25]
	s_waitcnt lgkmcnt(0)
	v_fmac_f64_e32 v[30:31], v[50:51], v[4:5]
	s_or_b64 s[28:29], vcc, s[28:29]
	v_fmac_f64_e32 v[30:31], v[52:53], v[6:7]
	ds_write_b64 v45, v[30:31]
	s_andn2_b64 exec, exec, s[28:29]
	s_cbranch_execnz .LBB0_65
	s_branch .LBB0_62
.LBB0_66:                               ;   in Loop: Header=BB0_12 Depth=1
	s_or_b64 exec, exec, s[4:5]
	s_waitcnt lgkmcnt(0)
	; wave barrier
	s_waitcnt lgkmcnt(0)
	s_and_saveexec_b64 s[4:5], s[0:1]
	s_cbranch_execz .LBB0_11
; %bb.67:                               ;   in Loop: Header=BB0_12 Depth=1
	s_load_dword s22, s[16:17], 0x10
	s_mov_b32 s6, s7
	s_mov_b32 s30, s7
	s_mov_b64 s[20:21], 0
	v_pk_mov_b32 v[20:21], v[18:19], v[18:19] op_sel:[0,1]
	s_waitcnt lgkmcnt(0)
	s_and_b32 s31, s22, 0xffff
	s_mul_i32 s34, s31, 0x48
	v_pk_mov_b32 v[22:23], v[8:9], v[8:9] op_sel:[0,1]
	s_branch .LBB0_69
.LBB0_68:                               ;   in Loop: Header=BB0_69 Depth=2
	s_or_b64 exec, exec, s[22:23]
	v_mov_b32_e32 v0, s6
	v_add_co_u32_e32 v22, vcc, s31, v22
	v_addc_co_u32_e32 v23, vcc, v23, v0, vcc
	v_cmp_lt_u64_e32 vcc, 2, v[22:23]
	v_mov_b32_e32 v0, s30
	s_or_b64 s[20:21], vcc, s[20:21]
	v_add_co_u32_e32 v20, vcc, s34, v20
	v_addc_co_u32_e32 v21, vcc, v21, v0, vcc
	s_andn2_b64 exec, exec, s[20:21]
	s_cbranch_execz .LBB0_11
.LBB0_69:                               ;   Parent Loop BB0_12 Depth=1
                                        ; =>  This Loop Header: Depth=2
                                        ;       Child Loop BB0_72 Depth 3
                                        ;         Child Loop BB0_74 Depth 4
	s_and_saveexec_b64 s[22:23], s[14:15]
	s_cbranch_execz .LBB0_68
; %bb.70:                               ;   in Loop: Header=BB0_69 Depth=2
	s_load_dword s26, s[16:17], 0xc
	s_mov_b32 s35, s7
	v_lshl_add_u32 v45, v22, 5, v41
	s_mov_b32 s36, s7
	s_mov_b64 s[24:25], 0
	s_waitcnt lgkmcnt(0)
	s_lshr_b32 s37, s26, 16
	s_mul_i32 s38, s37, 24
	v_mov_b32_e32 v46, v44
	v_pk_mov_b32 v[24:25], v[20:21], v[20:21] op_sel:[0,1]
	v_pk_mov_b32 v[26:27], v[10:11], v[10:11] op_sel:[0,1]
	s_branch .LBB0_72
.LBB0_71:                               ;   in Loop: Header=BB0_72 Depth=3
	s_or_b64 exec, exec, s[26:27]
	v_mov_b32_e32 v0, s35
	v_add_co_u32_e32 v26, vcc, s37, v26
	v_addc_co_u32_e32 v27, vcc, v27, v0, vcc
	v_mov_b32_e32 v0, s36
	v_add_co_u32_e32 v24, vcc, s38, v24
	v_addc_co_u32_e32 v25, vcc, v25, v0, vcc
	v_cmp_lt_u64_e32 vcc, 2, v[26:27]
	s_or_b64 s[24:25], vcc, s[24:25]
	v_add_u32_e32 v46, s38, v46
	s_andn2_b64 exec, exec, s[24:25]
	s_cbranch_execz .LBB0_68
.LBB0_72:                               ;   Parent Loop BB0_12 Depth=1
                                        ;     Parent Loop BB0_69 Depth=2
                                        ; =>    This Loop Header: Depth=3
                                        ;         Child Loop BB0_74 Depth 4
	s_and_saveexec_b64 s[26:27], s[8:9]
	s_cbranch_execz .LBB0_71
; %bb.73:                               ;   in Loop: Header=BB0_72 Depth=3
	s_load_dword s40, s[16:17], 0xc
	ds_read_b128 v[0:3], v45
	ds_read_b128 v[4:7], v45 offset:16
	s_mov_b32 s39, s7
	s_mov_b64 s[28:29], 0
	v_mov_b32_e32 v47, v46
	s_waitcnt lgkmcnt(0)
	s_and_b32 s40, s40, 0xffff
	s_lshl_b32 s41, s40, 3
	v_pk_mov_b32 v[28:29], v[24:25], v[24:25] op_sel:[0,1]
	v_pk_mov_b32 v[30:31], v[12:13], v[12:13] op_sel:[0,1]
.LBB0_74:                               ;   Parent Loop BB0_12 Depth=1
                                        ;     Parent Loop BB0_69 Depth=2
                                        ;       Parent Loop BB0_72 Depth=3
                                        ; =>      This Inner Loop Header: Depth=4
	ds_read2_b64 v[48:51], v47 offset1:9
	ds_read2_b64 v[52:55], v47 offset0:18 offset1:27
	v_mov_b32_e32 v56, s7
	v_add_co_u32_e32 v30, vcc, s40, v30
	s_waitcnt lgkmcnt(1)
	v_fma_f64 v[48:49], v[48:49], v[0:1], 0
	v_fmac_f64_e32 v[48:49], v[50:51], v[2:3]
	v_addc_co_u32_e32 v31, vcc, v31, v56, vcc
	s_waitcnt lgkmcnt(0)
	v_fmac_f64_e32 v[48:49], v[52:53], v[4:5]
	v_cmp_lt_u64_e32 vcc, 2, v[30:31]
	v_fmac_f64_e32 v[48:49], v[54:55], v[6:7]
	v_mov_b32_e32 v57, s39
	s_or_b64 s[28:29], vcc, s[28:29]
	global_store_dwordx2 v[28:29], v[48:49], off
	v_add_co_u32_e32 v28, vcc, s41, v28
	v_add_u32_e32 v47, s41, v47
	v_addc_co_u32_e32 v29, vcc, v29, v57, vcc
	s_andn2_b64 exec, exec, s[28:29]
	s_cbranch_execnz .LBB0_74
	s_branch .LBB0_71
.LBB0_75:
	s_endpgm
	.section	.rodata,"a",@progbits
	.p2align	6, 0x0
	.amdhsa_kernel _ZN8rajaperf4apps15MassVec3DPALoopILm64EEEvPdS2_S2_S2_
		.amdhsa_group_segment_fixed_size 1216
		.amdhsa_private_segment_fixed_size 0
		.amdhsa_kernarg_size 288
		.amdhsa_user_sgpr_count 6
		.amdhsa_user_sgpr_private_segment_buffer 1
		.amdhsa_user_sgpr_dispatch_ptr 0
		.amdhsa_user_sgpr_queue_ptr 0
		.amdhsa_user_sgpr_kernarg_segment_ptr 1
		.amdhsa_user_sgpr_dispatch_id 0
		.amdhsa_user_sgpr_flat_scratch_init 0
		.amdhsa_user_sgpr_kernarg_preload_length 0
		.amdhsa_user_sgpr_kernarg_preload_offset 0
		.amdhsa_user_sgpr_private_segment_size 0
		.amdhsa_uses_dynamic_stack 0
		.amdhsa_system_sgpr_private_segment_wavefront_offset 0
		.amdhsa_system_sgpr_workgroup_id_x 1
		.amdhsa_system_sgpr_workgroup_id_y 0
		.amdhsa_system_sgpr_workgroup_id_z 0
		.amdhsa_system_sgpr_workgroup_info 0
		.amdhsa_system_vgpr_workitem_id 2
		.amdhsa_next_free_vgpr 59
		.amdhsa_next_free_sgpr 45
		.amdhsa_accum_offset 60
		.amdhsa_reserve_vcc 1
		.amdhsa_reserve_flat_scratch 0
		.amdhsa_float_round_mode_32 0
		.amdhsa_float_round_mode_16_64 0
		.amdhsa_float_denorm_mode_32 3
		.amdhsa_float_denorm_mode_16_64 3
		.amdhsa_dx10_clamp 1
		.amdhsa_ieee_mode 1
		.amdhsa_fp16_overflow 0
		.amdhsa_tg_split 0
		.amdhsa_exception_fp_ieee_invalid_op 0
		.amdhsa_exception_fp_denorm_src 0
		.amdhsa_exception_fp_ieee_div_zero 0
		.amdhsa_exception_fp_ieee_overflow 0
		.amdhsa_exception_fp_ieee_underflow 0
		.amdhsa_exception_fp_ieee_inexact 0
		.amdhsa_exception_int_div_zero 0
	.end_amdhsa_kernel
	.section	.text._ZN8rajaperf4apps15MassVec3DPALoopILm64EEEvPdS2_S2_S2_,"axG",@progbits,_ZN8rajaperf4apps15MassVec3DPALoopILm64EEEvPdS2_S2_S2_,comdat
.Lfunc_end0:
	.size	_ZN8rajaperf4apps15MassVec3DPALoopILm64EEEvPdS2_S2_S2_, .Lfunc_end0-_ZN8rajaperf4apps15MassVec3DPALoopILm64EEEvPdS2_S2_S2_
                                        ; -- End function
	.section	.AMDGPU.csdata,"",@progbits
; Kernel info:
; codeLenInByte = 3608
; NumSgprs: 49
; NumVgprs: 59
; NumAgprs: 0
; TotalNumVgprs: 59
; ScratchSize: 0
; MemoryBound: 0
; FloatMode: 240
; IeeeMode: 1
; LDSByteSize: 1216 bytes/workgroup (compile time only)
; SGPRBlocks: 6
; VGPRBlocks: 7
; NumSGPRsForWavesPerEU: 49
; NumVGPRsForWavesPerEU: 59
; AccumOffset: 60
; Occupancy: 8
; WaveLimiterHint : 0
; COMPUTE_PGM_RSRC2:SCRATCH_EN: 0
; COMPUTE_PGM_RSRC2:USER_SGPR: 6
; COMPUTE_PGM_RSRC2:TRAP_HANDLER: 0
; COMPUTE_PGM_RSRC2:TGID_X_EN: 1
; COMPUTE_PGM_RSRC2:TGID_Y_EN: 0
; COMPUTE_PGM_RSRC2:TGID_Z_EN: 0
; COMPUTE_PGM_RSRC2:TIDIG_COMP_CNT: 2
; COMPUTE_PGM_RSRC3_GFX90A:ACCUM_OFFSET: 14
; COMPUTE_PGM_RSRC3_GFX90A:TG_SPLIT: 0
	.section	.text._ZN4RAJA34launch_new_reduce_global_fcn_fixedIZN8rajaperf4apps11MASSVEC3DPA17runHipVariantImplILm64ELm0EEEvNS1_9VariantIDEEUlNS_14LaunchContextTINS_3hip33LaunchContextIndicesAndDimsPolicyINS7_14IndicesAndDimsILb0ELb0ELb0ELb0EEEEEEEE_Li64ENS_4expt15ForallParamPackIJEEEEEvT_T1_,"axG",@progbits,_ZN4RAJA34launch_new_reduce_global_fcn_fixedIZN8rajaperf4apps11MASSVEC3DPA17runHipVariantImplILm64ELm0EEEvNS1_9VariantIDEEUlNS_14LaunchContextTINS_3hip33LaunchContextIndicesAndDimsPolicyINS7_14IndicesAndDimsILb0ELb0ELb0ELb0EEEEEEEE_Li64ENS_4expt15ForallParamPackIJEEEEEvT_T1_,comdat
	.protected	_ZN4RAJA34launch_new_reduce_global_fcn_fixedIZN8rajaperf4apps11MASSVEC3DPA17runHipVariantImplILm64ELm0EEEvNS1_9VariantIDEEUlNS_14LaunchContextTINS_3hip33LaunchContextIndicesAndDimsPolicyINS7_14IndicesAndDimsILb0ELb0ELb0ELb0EEEEEEEE_Li64ENS_4expt15ForallParamPackIJEEEEEvT_T1_ ; -- Begin function _ZN4RAJA34launch_new_reduce_global_fcn_fixedIZN8rajaperf4apps11MASSVEC3DPA17runHipVariantImplILm64ELm0EEEvNS1_9VariantIDEEUlNS_14LaunchContextTINS_3hip33LaunchContextIndicesAndDimsPolicyINS7_14IndicesAndDimsILb0ELb0ELb0ELb0EEEEEEEE_Li64ENS_4expt15ForallParamPackIJEEEEEvT_T1_
	.globl	_ZN4RAJA34launch_new_reduce_global_fcn_fixedIZN8rajaperf4apps11MASSVEC3DPA17runHipVariantImplILm64ELm0EEEvNS1_9VariantIDEEUlNS_14LaunchContextTINS_3hip33LaunchContextIndicesAndDimsPolicyINS7_14IndicesAndDimsILb0ELb0ELb0ELb0EEEEEEEE_Li64ENS_4expt15ForallParamPackIJEEEEEvT_T1_
	.p2align	8
	.type	_ZN4RAJA34launch_new_reduce_global_fcn_fixedIZN8rajaperf4apps11MASSVEC3DPA17runHipVariantImplILm64ELm0EEEvNS1_9VariantIDEEUlNS_14LaunchContextTINS_3hip33LaunchContextIndicesAndDimsPolicyINS7_14IndicesAndDimsILb0ELb0ELb0ELb0EEEEEEEE_Li64ENS_4expt15ForallParamPackIJEEEEEvT_T1_,@function
_ZN4RAJA34launch_new_reduce_global_fcn_fixedIZN8rajaperf4apps11MASSVEC3DPA17runHipVariantImplILm64ELm0EEEvNS1_9VariantIDEEUlNS_14LaunchContextTINS_3hip33LaunchContextIndicesAndDimsPolicyINS7_14IndicesAndDimsILb0ELb0ELb0ELb0EEEEEEEE_Li64ENS_4expt15ForallParamPackIJEEEEEvT_T1_: ; @_ZN4RAJA34launch_new_reduce_global_fcn_fixedIZN8rajaperf4apps11MASSVEC3DPA17runHipVariantImplILm64ELm0EEEvNS1_9VariantIDEEUlNS_14LaunchContextTINS_3hip33LaunchContextIndicesAndDimsPolicyINS7_14IndicesAndDimsILb0ELb0ELb0ELb0EEEEEEEE_Li64ENS_4expt15ForallParamPackIJEEEEEvT_T1_
; %bb.0:
	s_load_dwordx8 s[16:23], s[4:5], 0x0
	s_mov_b32 s14, s7
	s_mov_b32 s7, 0
	v_pk_mov_b32 v[2:3], s[6:7], s[6:7] op_sel:[0,1]
	s_waitcnt lgkmcnt(0)
	v_cmp_le_i64_e32 vcc, s[16:17], v[2:3]
	s_cbranch_vccnz .LBB1_78
; %bb.1:
	s_load_dword s10, s[4:5], 0x40
	s_load_dwordx2 s[24:25], s[4:5], 0x20
	v_bfe_u32 v8, v0, 20, 10
	s_add_u32 s16, s4, 48
	s_addc_u32 s17, s5, 0
	s_waitcnt lgkmcnt(0)
	s_and_b32 s15, s10, 0xffff
	v_cmp_ne_u32_e32 vcc, 0, v8
	v_bfe_u32 v10, v0, 10, 10
                                        ; implicit-def: $vgpr12
                                        ; implicit-def: $vgpr2_vgpr3
                                        ; implicit-def: $vgpr4_vgpr5
	s_and_saveexec_b64 s[0:1], vcc
	s_xor_b64 s[0:1], exec, s[0:1]
; %bb.2:
	v_bfe_u32 v10, v0, 10, 10
	v_mov_b32_e32 v11, 0
	v_and_b32_e32 v12, 0x3ff, v0
	v_mov_b32_e32 v13, v11
	v_lshlrev_b32_e32 v2, 3, v12
	v_mov_b32_e32 v3, v11
	v_lshlrev_b32_e32 v4, 5, v10
	v_mov_b32_e32 v5, v11
                                        ; implicit-def: $vgpr0
; %bb.3:
	s_or_saveexec_b64 s[8:9], s[0:1]
	v_mov_b32_e32 v1, s15
	s_xor_b64 exec, exec, s[8:9]
	s_cbranch_execz .LBB1_13
; %bb.4:
	v_and_b32_e32 v12, 0x3ff, v0
	v_lshlrev_b32_e32 v4, 5, v10
	v_lshlrev_b32_e32 v2, 3, v12
	s_load_dword s2, s[16:17], 0xc
	v_add_co_u32_e32 v0, vcc, v4, v2
	v_addc_co_u32_e64 v1, s[4:5], 0, 0, vcc
	v_mov_b32_e32 v6, s19
	v_add_co_u32_e32 v0, vcc, s18, v0
	s_movk_i32 s4, 0x460
	v_addc_co_u32_e32 v1, vcc, v6, v1, vcc
	v_add3_u32 v9, v4, v2, s4
	v_mul_u32_u24_e32 v6, 24, v12
	v_lshlrev_b32_e32 v7, 3, v10
	s_movk_i32 s4, 0x400
	v_add3_u32 v20, v6, v7, s4
	v_cmp_ne_u16_e64 s[4:5], s10, 0
	s_mov_b32 s28, 0
	v_mov_b32_e32 v11, 0
	s_waitcnt lgkmcnt(0)
	s_lshr_b32 s29, s2, 16
	v_cndmask_b32_e64 v6, 0, 1, s[4:5]
	v_cmp_gt_u32_e64 s[0:1], 3, v10
	v_cmp_gt_u32_e64 s[2:3], 4, v12
	v_mov_b32_e32 v13, v11
	v_mov_b32_e32 v5, v11
	;; [unrolled: 1-line block ×3, first 2 shown]
	s_lshl_b32 s30, s29, 5
	s_mov_b32 s31, s28
	s_lshl_b32 s33, s29, 3
	v_cmp_ne_u32_e64 s[4:5], 1, v6
	s_branch .LBB1_6
.LBB1_5:                                ;   in Loop: Header=BB1_6 Depth=1
	s_or_b64 exec, exec, s[10:11]
	s_and_b64 vcc, exec, s[4:5]
	s_cbranch_vccz .LBB1_12
.LBB1_6:                                ; =>This Loop Header: Depth=1
                                        ;     Child Loop BB1_9 Depth 2
                                        ;       Child Loop BB1_11 Depth 3
	s_and_saveexec_b64 s[10:11], s[0:1]
	s_cbranch_execz .LBB1_5
; %bb.7:                                ;   in Loop: Header=BB1_6 Depth=1
	s_load_dword s12, s[16:17], 0x0
	v_mov_b32_e32 v21, v20
	v_mov_b32_e32 v22, v9
	v_pk_mov_b32 v[6:7], v[0:1], v[0:1] op_sel:[0,1]
	s_waitcnt lgkmcnt(0)
	s_cmp_lt_u32 s6, s12
	s_cselect_b32 s12, 12, 18
	s_add_u32 s12, s16, s12
	s_addc_u32 s13, s17, 0
	global_load_ushort v14, v11, s[12:13]
	s_mov_b64 s[12:13], 0
	s_waitcnt vmcnt(0)
	v_and_b32_e32 v23, 0xffff, v14
	v_lshlrev_b32_e32 v24, 3, v23
	v_mul_lo_u32 v25, v23, 24
	v_pk_mov_b32 v[14:15], v[10:11], v[10:11] op_sel:[0,1]
	s_branch .LBB1_9
.LBB1_8:                                ;   in Loop: Header=BB1_9 Depth=2
	s_or_b64 exec, exec, s[18:19]
	v_mov_b32_e32 v16, s28
	v_add_co_u32_e32 v14, vcc, s29, v14
	v_addc_co_u32_e32 v15, vcc, v15, v16, vcc
	v_mov_b32_e32 v16, s31
	v_add_co_u32_e32 v6, vcc, s30, v6
	v_addc_co_u32_e32 v7, vcc, v7, v16, vcc
	v_cmp_lt_u64_e32 vcc, 2, v[14:15]
	v_add_u32_e32 v22, s30, v22
	s_or_b64 s[12:13], vcc, s[12:13]
	v_add_u32_e32 v21, s33, v21
	s_andn2_b64 exec, exec, s[12:13]
	s_cbranch_execz .LBB1_5
.LBB1_9:                                ;   Parent Loop BB1_6 Depth=1
                                        ; =>  This Loop Header: Depth=2
                                        ;       Child Loop BB1_11 Depth 3
	s_and_saveexec_b64 s[18:19], s[2:3]
	s_cbranch_execz .LBB1_8
; %bb.10:                               ;   in Loop: Header=BB1_9 Depth=2
	s_mov_b64 s[26:27], 0
	v_mov_b32_e32 v26, v21
	v_mov_b32_e32 v27, v22
	v_pk_mov_b32 v[16:17], v[6:7], v[6:7] op_sel:[0,1]
	v_pk_mov_b32 v[18:19], v[12:13], v[12:13] op_sel:[0,1]
.LBB1_11:                               ;   Parent Loop BB1_6 Depth=1
                                        ;     Parent Loop BB1_9 Depth=2
                                        ; =>    This Inner Loop Header: Depth=3
	global_load_dwordx2 v[28:29], v[16:17], off
	v_add_co_u32_e32 v18, vcc, v18, v23
	v_addc_co_u32_e32 v19, vcc, 0, v19, vcc
	v_add_co_u32_e32 v16, vcc, v16, v24
	v_addc_co_u32_e32 v17, vcc, 0, v17, vcc
	v_cmp_lt_u64_e32 vcc, 3, v[18:19]
	s_or_b64 s[26:27], vcc, s[26:27]
	s_waitcnt vmcnt(0)
	ds_write_b64 v26, v[28:29]
	ds_write_b64 v27, v[28:29]
	v_add_u32_e32 v27, v27, v24
	v_add_u32_e32 v26, v26, v25
	s_andn2_b64 exec, exec, s[26:27]
	s_cbranch_execnz .LBB1_11
	s_branch .LBB1_8
.LBB1_12:
	v_mov_b32_e32 v1, s15
.LBB1_13:
	s_or_b64 exec, exec, s[8:9]
	v_mul_hi_u32_u24_e32 v7, 0x48, v8
	v_mul_u32_u24_e32 v6, 0x48, v8
	v_mov_b32_e32 v0, 0x288
	v_mad_u64_u32 v[6:7], s[26:27], s6, v0, v[6:7]
	v_mad_u64_u32 v[6:7], s[26:27], v10, 24, v[6:7]
	v_mov_b32_e32 v0, v7
	v_mad_u64_u32 v[14:15], s[26:27], v11, 24, v[0:1]
	v_mov_b32_e32 v7, v14
	v_add_co_u32_e32 v0, vcc, v6, v2
	v_addc_co_u32_e32 v21, vcc, v7, v3, vcc
	v_mov_b32_e32 v6, s21
	v_add_co_u32_e32 v14, vcc, s20, v0
	v_addc_co_u32_e32 v15, vcc, v6, v21, vcc
	v_lshlrev_b32_e32 v18, 3, v12
	s_movk_i32 s20, 0x60
	v_mov_b32_e32 v6, 0x400
	v_lshlrev_b32_e32 v19, 5, v10
	v_mad_u32_u24 v36, v8, s20, v18
	s_movk_i32 s21, 0x200
	v_mov_b32_e32 v7, 0
	v_add3_u32 v37, v36, v19, s21
	v_mul_lo_u32 v38, v1, s20
	v_mad_u64_u32 v[16:17], s[20:21], v12, 24, v[6:7]
	s_lshl_b64 s[18:19], s[6:7], 9
	s_movk_i32 s7, 0x48
	v_lshlrev_b32_e32 v6, 7, v8
	v_add_u32_e32 v17, v19, v18
	v_mul_lo_u32 v35, v1, s7
	v_add_u32_e32 v39, v17, v6
	v_lshlrev_b32_e32 v40, 7, v1
	v_mov_b32_e32 v1, s19
	v_add_co_u32_e32 v6, vcc, s18, v6
	v_addc_co_u32_e32 v1, vcc, 0, v1, vcc
	v_add_co_u32_e32 v4, vcc, v6, v4
	v_addc_co_u32_e32 v1, vcc, v1, v5, vcc
	v_add_co_u32_e32 v2, vcc, v4, v2
	v_mul_lo_u32 v20, v10, 24
	v_addc_co_u32_e32 v1, vcc, v1, v3, vcc
	v_add_u32_e32 v22, v20, v18
	v_mov_b32_e32 v3, s23
	v_add_co_u32_e32 v18, vcc, s22, v2
	v_addc_co_u32_e32 v19, vcc, v3, v1, vcc
	s_mov_b32 s33, 0
	v_mad_u32_u24 v34, v8, s7, v22
	v_add_u32_e32 v43, v36, v20
	v_mov_b32_e32 v44, 0x460
	v_mov_b32_e32 v1, s25
	v_add_co_u32_e32 v20, vcc, s24, v0
	v_mov_b32_e32 v9, 0
	v_cmp_gt_u32_e64 s[0:1], 3, v8
	v_cmp_gt_u32_e64 s[2:3], 4, v8
	;; [unrolled: 1-line block ×6, first 2 shown]
	s_mul_i32 s34, s15, 0x48
	s_mov_b32 s35, s33
	v_add_u32_e32 v41, 0x200, v36
	s_lshl_b32 s36, s15, 7
	s_mov_b32 s37, s33
	v_add_u32_e32 v42, 0x200, v39
	v_lshl_add_u32 v45, v12, 5, v44
	v_add_u32_e32 v46, 0x200, v34
	v_addc_co_u32_e32 v21, vcc, v1, v21, vcc
	v_add_u32_e32 v47, 0x200, v22
	s_mov_b64 s[18:19], 0
	s_branch .LBB1_15
.LBB1_14:                               ;   in Loop: Header=BB1_15 Depth=1
	s_or_b64 exec, exec, s[20:21]
	v_add_co_u32_e32 v14, vcc, 0xd8, v14
	s_add_u32 s18, s18, 1
	v_addc_co_u32_e32 v15, vcc, 0, v15, vcc
	s_addc_u32 s19, s19, 0
	v_add_co_u32_e32 v20, vcc, 0xd8, v20
	s_cmp_lg_u64 s[18:19], 3
	v_addc_co_u32_e32 v21, vcc, 0, v21, vcc
	s_waitcnt lgkmcnt(0)
	; wave barrier
	s_cbranch_scc0 .LBB1_78
.LBB1_15:                               ; =>This Loop Header: Depth=1
                                        ;     Child Loop BB1_18 Depth 2
                                        ;       Child Loop BB1_21 Depth 3
                                        ;         Child Loop BB1_23 Depth 4
                                        ;     Child Loop BB1_27 Depth 2
                                        ;       Child Loop BB1_30 Depth 3
                                        ;         Child Loop BB1_32 Depth 4
	;; [unrolled: 3-line block ×7, first 2 shown]
	s_and_saveexec_b64 s[20:21], s[0:1]
	s_cbranch_execz .LBB1_24
; %bb.16:                               ;   in Loop: Header=BB1_15 Depth=1
	s_load_dword s22, s[16:17], 0x4
	v_mov_b32_e32 v26, v34
	v_pk_mov_b32 v[0:1], v[14:15], v[14:15] op_sel:[0,1]
	s_waitcnt lgkmcnt(0)
	s_cmp_lt_u32 s14, s22
	s_cselect_b32 s22, 14, 20
	s_add_u32 s22, s16, s22
	s_addc_u32 s23, s17, 0
	global_load_ushort v2, v9, s[22:23]
	s_mov_b64 s[22:23], 0
	s_waitcnt vmcnt(0)
	v_and_b32_e32 v27, 0xffff, v2
	v_mul_lo_u32 v28, v27, 24
	v_pk_mov_b32 v[2:3], v[8:9], v[8:9] op_sel:[0,1]
	s_branch .LBB1_18
.LBB1_17:                               ;   in Loop: Header=BB1_18 Depth=2
	s_or_b64 exec, exec, s[24:25]
	v_add_co_u32_e32 v2, vcc, s15, v2
	v_addc_co_u32_e32 v3, vcc, 0, v3, vcc
	v_mov_b32_e32 v4, s35
	v_add_co_u32_e32 v0, vcc, s34, v0
	v_addc_co_u32_e32 v1, vcc, v1, v4, vcc
	v_cmp_lt_u64_e32 vcc, 2, v[2:3]
	s_or_b64 s[22:23], vcc, s[22:23]
	v_add_u32_e32 v26, v26, v35
	s_andn2_b64 exec, exec, s[22:23]
	s_cbranch_execz .LBB1_24
.LBB1_18:                               ;   Parent Loop BB1_15 Depth=1
                                        ; =>  This Loop Header: Depth=2
                                        ;       Child Loop BB1_21 Depth 3
                                        ;         Child Loop BB1_23 Depth 4
	s_and_saveexec_b64 s[24:25], s[4:5]
	s_cbranch_execz .LBB1_17
; %bb.19:                               ;   in Loop: Header=BB1_18 Depth=2
	s_load_dword s26, s[16:17], 0x0
	v_mov_b32_e32 v29, v26
	v_pk_mov_b32 v[4:5], v[0:1], v[0:1] op_sel:[0,1]
	s_waitcnt lgkmcnt(0)
	s_cmp_lt_u32 s6, s26
	s_cselect_b32 s26, 12, 18
	s_add_u32 s26, s16, s26
	s_addc_u32 s27, s17, 0
	global_load_ushort v6, v9, s[26:27]
	s_mov_b64 s[26:27], 0
	s_waitcnt vmcnt(0)
	v_and_b32_e32 v30, 0xffff, v6
	v_lshlrev_b32_e32 v31, 3, v30
	v_pk_mov_b32 v[6:7], v[10:11], v[10:11] op_sel:[0,1]
	s_branch .LBB1_21
.LBB1_20:                               ;   in Loop: Header=BB1_21 Depth=3
	s_or_b64 exec, exec, s[28:29]
	v_add_co_u32_e32 v6, vcc, v6, v27
	v_addc_co_u32_e32 v7, vcc, 0, v7, vcc
	v_add_co_u32_e32 v4, vcc, v4, v28
	v_addc_co_u32_e32 v5, vcc, 0, v5, vcc
	v_cmp_lt_u64_e32 vcc, 2, v[6:7]
	s_or_b64 s[26:27], vcc, s[26:27]
	v_add_u32_e32 v29, v29, v28
	s_andn2_b64 exec, exec, s[26:27]
	s_cbranch_execz .LBB1_17
.LBB1_21:                               ;   Parent Loop BB1_15 Depth=1
                                        ;     Parent Loop BB1_18 Depth=2
                                        ; =>    This Loop Header: Depth=3
                                        ;         Child Loop BB1_23 Depth 4
	s_and_saveexec_b64 s[28:29], s[8:9]
	s_cbranch_execz .LBB1_20
; %bb.22:                               ;   in Loop: Header=BB1_21 Depth=3
	s_mov_b64 s[30:31], 0
	v_mov_b32_e32 v32, v29
	v_pk_mov_b32 v[22:23], v[4:5], v[4:5] op_sel:[0,1]
	v_pk_mov_b32 v[24:25], v[12:13], v[12:13] op_sel:[0,1]
.LBB1_23:                               ;   Parent Loop BB1_15 Depth=1
                                        ;     Parent Loop BB1_18 Depth=2
                                        ;       Parent Loop BB1_21 Depth=3
                                        ; =>      This Inner Loop Header: Depth=4
	global_load_dwordx2 v[48:49], v[22:23], off
	v_add_co_u32_e32 v24, vcc, v24, v30
	v_addc_co_u32_e32 v25, vcc, 0, v25, vcc
	v_add_co_u32_e32 v22, vcc, v22, v31
	v_addc_co_u32_e32 v23, vcc, 0, v23, vcc
	v_cmp_lt_u64_e32 vcc, 2, v[24:25]
	s_or_b64 s[30:31], vcc, s[30:31]
	s_waitcnt vmcnt(0)
	ds_write_b64 v32, v[48:49]
	v_add_u32_e32 v32, v32, v31
	s_andn2_b64 exec, exec, s[30:31]
	s_cbranch_execnz .LBB1_23
	s_branch .LBB1_20
.LBB1_24:                               ;   in Loop: Header=BB1_15 Depth=1
	s_or_b64 exec, exec, s[20:21]
	s_waitcnt lgkmcnt(0)
	; wave barrier
	s_waitcnt lgkmcnt(0)
	s_and_saveexec_b64 s[20:21], s[0:1]
	s_cbranch_execz .LBB1_33
; %bb.25:                               ;   in Loop: Header=BB1_15 Depth=1
	s_load_dword s22, s[16:17], 0x4
	v_mov_b32_e32 v26, v37
	v_pk_mov_b32 v[4:5], v[8:9], v[8:9] op_sel:[0,1]
	s_waitcnt lgkmcnt(0)
	s_cmp_lt_u32 s14, s22
	s_cselect_b32 s22, 14, 20
	s_add_u32 s22, s16, s22
	s_addc_u32 s23, s17, 0
	global_load_ushort v0, v9, s[22:23]
	s_mov_b64 s[22:23], 0
	s_waitcnt vmcnt(0)
	v_and_b32_e32 v27, 0xffff, v0
	v_lshlrev_b32_e32 v28, 5, v27
	s_branch .LBB1_27
.LBB1_26:                               ;   in Loop: Header=BB1_27 Depth=2
	s_or_b64 exec, exec, s[24:25]
	v_add_co_u32_e32 v4, vcc, s15, v4
	v_addc_co_u32_e32 v5, vcc, 0, v5, vcc
	v_cmp_lt_u64_e32 vcc, 2, v[4:5]
	s_or_b64 s[22:23], vcc, s[22:23]
	v_add_u32_e32 v26, v26, v38
	s_andn2_b64 exec, exec, s[22:23]
	s_cbranch_execz .LBB1_33
.LBB1_27:                               ;   Parent Loop BB1_15 Depth=1
                                        ; =>  This Loop Header: Depth=2
                                        ;       Child Loop BB1_30 Depth 3
                                        ;         Child Loop BB1_32 Depth 4
	s_and_saveexec_b64 s[24:25], s[4:5]
	s_cbranch_execz .LBB1_26
; %bb.28:                               ;   in Loop: Header=BB1_27 Depth=2
	s_load_dword s26, s[16:17], 0x0
	v_mov_b32_e32 v29, v26
	v_pk_mov_b32 v[6:7], v[10:11], v[10:11] op_sel:[0,1]
	s_waitcnt lgkmcnt(0)
	s_cmp_lt_u32 s6, s26
	s_cselect_b32 s26, 12, 18
	s_add_u32 s26, s16, s26
	s_addc_u32 s27, s17, 0
	global_load_ushort v0, v9, s[26:27]
	s_mov_b64 s[26:27], 0
	s_waitcnt vmcnt(0)
	v_and_b32_e32 v30, 0xffff, v0
	v_lshlrev_b32_e32 v31, 3, v30
	v_mul_lo_u32 v32, v30, 24
	s_branch .LBB1_30
.LBB1_29:                               ;   in Loop: Header=BB1_30 Depth=3
	s_or_b64 exec, exec, s[28:29]
	v_add_co_u32_e32 v6, vcc, v6, v27
	v_addc_co_u32_e32 v7, vcc, 0, v7, vcc
	v_cmp_lt_u64_e32 vcc, 2, v[6:7]
	s_or_b64 s[26:27], vcc, s[26:27]
	v_add_u32_e32 v29, v29, v28
	s_andn2_b64 exec, exec, s[26:27]
	s_cbranch_execz .LBB1_26
.LBB1_30:                               ;   Parent Loop BB1_15 Depth=1
                                        ;     Parent Loop BB1_27 Depth=2
                                        ; =>    This Loop Header: Depth=3
                                        ;         Child Loop BB1_32 Depth 4
	s_and_saveexec_b64 s[28:29], s[10:11]
	s_cbranch_execz .LBB1_29
; %bb.31:                               ;   in Loop: Header=BB1_30 Depth=3
	v_mul_lo_u32 v0, v6, 24
	v_mad_u64_u32 v[22:23], s[30:31], v4, s7, v[0:1]
	ds_read2_b64 v[0:3], v22 offset1:1
	ds_read_b64 v[22:23], v22 offset:16
	s_mov_b64 s[30:31], 0
	v_mov_b32_e32 v33, v16
	v_mov_b32_e32 v48, v29
	v_pk_mov_b32 v[24:25], v[12:13], v[12:13] op_sel:[0,1]
.LBB1_32:                               ;   Parent Loop BB1_15 Depth=1
                                        ;     Parent Loop BB1_27 Depth=2
                                        ;       Parent Loop BB1_30 Depth=3
                                        ; =>      This Inner Loop Header: Depth=4
	ds_read2_b64 v[50:53], v33 offset1:1
	ds_read_b64 v[54:55], v33 offset:16
	v_add_co_u32_e32 v24, vcc, v24, v30
	v_addc_co_u32_e32 v25, vcc, 0, v25, vcc
	s_waitcnt lgkmcnt(1)
	v_fma_f64 v[50:51], v[0:1], v[50:51], 0
	v_fmac_f64_e32 v[50:51], v[2:3], v[52:53]
	v_cmp_lt_u64_e32 vcc, 3, v[24:25]
	s_waitcnt lgkmcnt(0)
	v_fmac_f64_e32 v[50:51], v[22:23], v[54:55]
	v_add_u32_e32 v33, v33, v32
	s_or_b64 s[30:31], vcc, s[30:31]
	ds_write_b64 v48, v[50:51]
	v_add_u32_e32 v48, v48, v31
	s_andn2_b64 exec, exec, s[30:31]
	s_cbranch_execnz .LBB1_32
	s_branch .LBB1_29
.LBB1_33:                               ;   in Loop: Header=BB1_15 Depth=1
	s_or_b64 exec, exec, s[20:21]
	s_waitcnt lgkmcnt(0)
	; wave barrier
	s_waitcnt lgkmcnt(0)
	s_and_saveexec_b64 s[20:21], s[0:1]
	s_cbranch_execz .LBB1_42
; %bb.34:                               ;   in Loop: Header=BB1_15 Depth=1
	s_load_dword s22, s[16:17], 0x4
	v_mov_b32_e32 v26, v41
	v_mov_b32_e32 v27, v39
	v_pk_mov_b32 v[4:5], v[8:9], v[8:9] op_sel:[0,1]
	s_waitcnt lgkmcnt(0)
	s_cmp_lt_u32 s14, s22
	s_cselect_b32 s22, 14, 20
	s_add_u32 s22, s16, s22
	s_addc_u32 s23, s17, 0
	global_load_ushort v0, v9, s[22:23]
	s_mov_b64 s[22:23], 0
	s_waitcnt vmcnt(0)
	v_and_b32_e32 v28, 0xffff, v0
	v_lshlrev_b32_e32 v29, 5, v28
	s_branch .LBB1_36
.LBB1_35:                               ;   in Loop: Header=BB1_36 Depth=2
	s_or_b64 exec, exec, s[24:25]
	v_add_co_u32_e32 v4, vcc, s15, v4
	v_addc_co_u32_e32 v5, vcc, 0, v5, vcc
	v_cmp_lt_u64_e32 vcc, 2, v[4:5]
	v_add_u32_e32 v27, v27, v40
	s_or_b64 s[22:23], vcc, s[22:23]
	v_add_u32_e32 v26, v26, v38
	s_andn2_b64 exec, exec, s[22:23]
	s_cbranch_execz .LBB1_42
.LBB1_36:                               ;   Parent Loop BB1_15 Depth=1
                                        ; =>  This Loop Header: Depth=2
                                        ;       Child Loop BB1_39 Depth 3
                                        ;         Child Loop BB1_41 Depth 4
	s_and_saveexec_b64 s[24:25], s[12:13]
	s_cbranch_execz .LBB1_35
; %bb.37:                               ;   in Loop: Header=BB1_36 Depth=2
	s_load_dword s26, s[16:17], 0x0
	v_mov_b32_e32 v30, v27
	v_pk_mov_b32 v[6:7], v[10:11], v[10:11] op_sel:[0,1]
	s_waitcnt lgkmcnt(0)
	s_cmp_lt_u32 s6, s26
	s_cselect_b32 s26, 12, 18
	s_add_u32 s26, s16, s26
	s_addc_u32 s27, s17, 0
	global_load_ushort v0, v9, s[26:27]
	s_mov_b64 s[26:27], 0
	s_waitcnt vmcnt(0)
	v_and_b32_e32 v31, 0xffff, v0
	v_lshlrev_b32_e32 v32, 3, v31
	s_branch .LBB1_39
.LBB1_38:                               ;   in Loop: Header=BB1_39 Depth=3
	s_or_b64 exec, exec, s[28:29]
	v_add_co_u32_e32 v6, vcc, v6, v28
	v_addc_co_u32_e32 v7, vcc, 0, v7, vcc
	v_cmp_lt_u64_e32 vcc, 3, v[6:7]
	s_or_b64 s[26:27], vcc, s[26:27]
	v_add_u32_e32 v30, v30, v29
	s_andn2_b64 exec, exec, s[26:27]
	s_cbranch_execz .LBB1_35
.LBB1_39:                               ;   Parent Loop BB1_15 Depth=1
                                        ;     Parent Loop BB1_36 Depth=2
                                        ; =>    This Loop Header: Depth=3
                                        ;         Child Loop BB1_41 Depth 4
	s_and_saveexec_b64 s[28:29], s[10:11]
	s_cbranch_execz .LBB1_38
; %bb.40:                               ;   in Loop: Header=BB1_39 Depth=3
	v_mul_lo_u32 v22, v6, 24
	ds_read2_b64 v[0:3], v22 offset0:128 offset1:129
	ds_read_b64 v[22:23], v22 offset:1040
	s_mov_b64 s[30:31], 0
	v_mov_b32_e32 v33, 0
	v_pk_mov_b32 v[24:25], v[12:13], v[12:13] op_sel:[0,1]
.LBB1_41:                               ;   Parent Loop BB1_15 Depth=1
                                        ;     Parent Loop BB1_36 Depth=2
                                        ;       Parent Loop BB1_39 Depth=3
                                        ; =>      This Inner Loop Header: Depth=4
	v_add_u32_e32 v52, v26, v33
	ds_read2_b64 v[48:51], v52 offset1:4
	ds_read_b64 v[52:53], v52 offset:64
	v_add_co_u32_e32 v24, vcc, v24, v31
	v_addc_co_u32_e32 v25, vcc, 0, v25, vcc
	s_waitcnt lgkmcnt(1)
	v_fma_f64 v[48:49], v[0:1], v[48:49], 0
	v_cmp_lt_u64_e32 vcc, 3, v[24:25]
	v_fmac_f64_e32 v[48:49], v[2:3], v[50:51]
	v_add_u32_e32 v54, v30, v33
	v_add_u32_e32 v33, v33, v32
	s_or_b64 s[30:31], vcc, s[30:31]
	s_waitcnt lgkmcnt(0)
	v_fmac_f64_e32 v[48:49], v[22:23], v[52:53]
	ds_write_b64 v54, v[48:49]
	s_andn2_b64 exec, exec, s[30:31]
	s_cbranch_execnz .LBB1_41
	s_branch .LBB1_38
.LBB1_42:                               ;   in Loop: Header=BB1_15 Depth=1
	s_or_b64 exec, exec, s[20:21]
	s_waitcnt lgkmcnt(0)
	; wave barrier
	s_waitcnt lgkmcnt(0)
	s_and_saveexec_b64 s[20:21], s[2:3]
	s_cbranch_execz .LBB1_51
; %bb.43:                               ;   in Loop: Header=BB1_15 Depth=1
	s_load_dword s22, s[16:17], 0x4
	v_mov_b32_e32 v48, v42
	v_pk_mov_b32 v[4:5], v[18:19], v[18:19] op_sel:[0,1]
	v_pk_mov_b32 v[6:7], v[8:9], v[8:9] op_sel:[0,1]
	s_waitcnt lgkmcnt(0)
	s_cmp_lt_u32 s14, s22
	s_cselect_b32 s22, 14, 20
	s_add_u32 s22, s16, s22
	s_addc_u32 s23, s17, 0
	global_load_ushort v0, v9, s[22:23]
	s_mov_b64 s[22:23], 0
	s_waitcnt vmcnt(0)
	v_and_b32_e32 v49, 0xffff, v0
	v_lshlrev_b32_e32 v50, 5, v49
	s_branch .LBB1_45
.LBB1_44:                               ;   in Loop: Header=BB1_45 Depth=2
	s_or_b64 exec, exec, s[24:25]
	v_add_co_u32_e32 v6, vcc, s15, v6
	v_addc_co_u32_e32 v7, vcc, 0, v7, vcc
	v_mov_b32_e32 v0, s37
	v_add_co_u32_e32 v4, vcc, s36, v4
	v_addc_co_u32_e32 v5, vcc, v5, v0, vcc
	v_cmp_lt_u64_e32 vcc, 3, v[6:7]
	s_or_b64 s[22:23], vcc, s[22:23]
	v_add_u32_e32 v48, v48, v40
	s_andn2_b64 exec, exec, s[22:23]
	s_cbranch_execz .LBB1_51
.LBB1_45:                               ;   Parent Loop BB1_15 Depth=1
                                        ; =>  This Loop Header: Depth=2
                                        ;       Child Loop BB1_48 Depth 3
                                        ;         Child Loop BB1_50 Depth 4
	s_and_saveexec_b64 s[24:25], s[12:13]
	s_cbranch_execz .LBB1_44
; %bb.46:                               ;   in Loop: Header=BB1_45 Depth=2
	s_load_dword s26, s[16:17], 0x0
	v_mov_b32_e32 v0, 0x400
	v_mov_b32_e32 v1, 0
	v_mad_u64_u32 v[24:25], s[28:29], v6, 24, v[0:1]
	s_waitcnt lgkmcnt(0)
	s_cmp_lt_u32 s6, s26
	s_cselect_b32 s26, 12, 18
	s_add_u32 s26, s16, s26
	s_addc_u32 s27, s17, 0
	global_load_ushort v2, v9, s[26:27]
	s_mov_b64 s[26:27], 0
	v_mov_b32_e32 v51, v17
	v_mov_b32_e32 v52, v48
	v_pk_mov_b32 v[22:23], v[4:5], v[4:5] op_sel:[0,1]
	v_pk_mov_b32 v[26:27], v[10:11], v[10:11] op_sel:[0,1]
	s_waitcnt vmcnt(0)
	v_and_b32_e32 v25, 0xffff, v2
	v_lshlrev_b32_e32 v53, 3, v25
	s_branch .LBB1_48
.LBB1_47:                               ;   in Loop: Header=BB1_48 Depth=3
	s_or_b64 exec, exec, s[28:29]
	v_add_co_u32_e32 v26, vcc, v26, v49
	v_addc_co_u32_e32 v27, vcc, 0, v27, vcc
	v_add_co_u32_e32 v22, vcc, v22, v50
	v_addc_co_u32_e32 v23, vcc, 0, v23, vcc
	v_cmp_lt_u64_e32 vcc, 3, v[26:27]
	v_add_u32_e32 v52, v52, v50
	s_or_b64 s[26:27], vcc, s[26:27]
	v_add_u32_e32 v51, v51, v50
	s_andn2_b64 exec, exec, s[26:27]
	s_cbranch_execz .LBB1_44
.LBB1_48:                               ;   Parent Loop BB1_15 Depth=1
                                        ;     Parent Loop BB1_45 Depth=2
                                        ; =>    This Loop Header: Depth=3
                                        ;         Child Loop BB1_50 Depth 4
	s_and_saveexec_b64 s[28:29], s[10:11]
	s_cbranch_execz .LBB1_47
; %bb.49:                               ;   in Loop: Header=BB1_48 Depth=3
	ds_read2_b64 v[0:3], v24 offset1:1
	ds_read_b64 v[28:29], v24 offset:16
	s_mov_b64 s[30:31], 0
	v_mov_b32_e32 v54, 0
	v_pk_mov_b32 v[30:31], v[22:23], v[22:23] op_sel:[0,1]
	v_pk_mov_b32 v[32:33], v[12:13], v[12:13] op_sel:[0,1]
.LBB1_50:                               ;   Parent Loop BB1_15 Depth=1
                                        ;     Parent Loop BB1_45 Depth=2
                                        ;       Parent Loop BB1_48 Depth=3
                                        ; =>      This Inner Loop Header: Depth=4
	v_add_u32_e32 v55, v51, v54
	ds_read2_b64 v[56:59], v55 offset1:16
	v_add_co_u32_e32 v32, vcc, v32, v25
	v_addc_co_u32_e32 v33, vcc, 0, v33, vcc
	s_waitcnt lgkmcnt(0)
	v_fma_f64 v[56:57], v[0:1], v[56:57], 0
	v_fmac_f64_e32 v[56:57], v[2:3], v[58:59]
	ds_read_b64 v[58:59], v55 offset:256
	v_add_u32_e32 v55, v52, v54
	v_add_u32_e32 v54, v54, v53
	s_waitcnt lgkmcnt(0)
	v_fmac_f64_e32 v[56:57], v[28:29], v[58:59]
	global_load_dwordx2 v[58:59], v[30:31], off
	v_add_co_u32_e32 v30, vcc, v30, v53
	v_addc_co_u32_e32 v31, vcc, 0, v31, vcc
	v_cmp_lt_u64_e32 vcc, 3, v[32:33]
	s_or_b64 s[30:31], vcc, s[30:31]
	s_waitcnt vmcnt(0)
	v_mul_f64 v[56:57], v[58:59], v[56:57]
	ds_write_b64 v55, v[56:57]
	s_andn2_b64 exec, exec, s[30:31]
	s_cbranch_execnz .LBB1_50
	s_branch .LBB1_47
.LBB1_51:                               ;   in Loop: Header=BB1_15 Depth=1
	s_or_b64 exec, exec, s[20:21]
	s_waitcnt lgkmcnt(0)
	; wave barrier
	s_waitcnt lgkmcnt(0)
	s_and_saveexec_b64 s[20:21], s[2:3]
	s_cbranch_execz .LBB1_60
; %bb.52:                               ;   in Loop: Header=BB1_15 Depth=1
	s_load_dword s22, s[16:17], 0x4
	v_mov_b32_e32 v28, v43
	v_pk_mov_b32 v[22:23], v[8:9], v[8:9] op_sel:[0,1]
	s_waitcnt lgkmcnt(0)
	s_cmp_lt_u32 s14, s22
	s_cselect_b32 s22, 14, 20
	s_add_u32 s22, s16, s22
	s_addc_u32 s23, s17, 0
	global_load_ushort v0, v9, s[22:23]
	s_mov_b64 s[22:23], 0
	s_waitcnt vmcnt(0)
	v_and_b32_e32 v29, 0xffff, v0
	v_mul_lo_u32 v30, v29, 24
	s_branch .LBB1_54
.LBB1_53:                               ;   in Loop: Header=BB1_54 Depth=2
	s_or_b64 exec, exec, s[24:25]
	v_add_co_u32_e32 v22, vcc, s15, v22
	v_addc_co_u32_e32 v23, vcc, 0, v23, vcc
	v_cmp_lt_u64_e32 vcc, 3, v[22:23]
	s_or_b64 s[22:23], vcc, s[22:23]
	v_add_u32_e32 v28, v28, v38
	s_andn2_b64 exec, exec, s[22:23]
	s_cbranch_execz .LBB1_60
.LBB1_54:                               ;   Parent Loop BB1_15 Depth=1
                                        ; =>  This Loop Header: Depth=2
                                        ;       Child Loop BB1_57 Depth 3
                                        ;         Child Loop BB1_59 Depth 4
	s_and_saveexec_b64 s[24:25], s[12:13]
	s_cbranch_execz .LBB1_53
; %bb.55:                               ;   in Loop: Header=BB1_54 Depth=2
	s_load_dword s26, s[16:17], 0x0
	v_mov_b32_e32 v31, v28
	v_pk_mov_b32 v[24:25], v[10:11], v[10:11] op_sel:[0,1]
	s_waitcnt lgkmcnt(0)
	s_cmp_lt_u32 s6, s26
	s_cselect_b32 s26, 12, 18
	s_add_u32 s26, s16, s26
	s_addc_u32 s27, s17, 0
	global_load_ushort v0, v9, s[26:27]
	s_mov_b64 s[26:27], 0
	s_waitcnt vmcnt(0)
	v_and_b32_e32 v32, 0xffff, v0
	v_lshlrev_b32_e32 v33, 3, v32
	v_lshlrev_b32_e32 v48, 5, v32
	s_branch .LBB1_57
.LBB1_56:                               ;   in Loop: Header=BB1_57 Depth=3
	s_or_b64 exec, exec, s[28:29]
	v_add_co_u32_e32 v24, vcc, v24, v29
	v_addc_co_u32_e32 v25, vcc, 0, v25, vcc
	v_cmp_lt_u64_e32 vcc, 3, v[24:25]
	s_or_b64 s[26:27], vcc, s[26:27]
	v_add_u32_e32 v31, v31, v30
	s_andn2_b64 exec, exec, s[26:27]
	s_cbranch_execz .LBB1_53
.LBB1_57:                               ;   Parent Loop BB1_15 Depth=1
                                        ;     Parent Loop BB1_54 Depth=2
                                        ; =>    This Loop Header: Depth=3
                                        ;         Child Loop BB1_59 Depth 4
	s_and_saveexec_b64 s[28:29], s[8:9]
	s_cbranch_execz .LBB1_56
; %bb.58:                               ;   in Loop: Header=BB1_57 Depth=3
	v_lshlrev_b32_e32 v0, 5, v24
	v_lshl_add_u32 v4, v22, 7, v0
	ds_read_b128 v[0:3], v4 offset:512
	ds_read_b128 v[4:7], v4 offset:528
	s_mov_b64 s[30:31], 0
	v_mov_b32_e32 v49, v45
	v_mov_b32_e32 v50, v31
	v_pk_mov_b32 v[26:27], v[12:13], v[12:13] op_sel:[0,1]
.LBB1_59:                               ;   Parent Loop BB1_15 Depth=1
                                        ;     Parent Loop BB1_54 Depth=2
                                        ;       Parent Loop BB1_57 Depth=3
                                        ; =>      This Inner Loop Header: Depth=4
	ds_read_b128 v[52:55], v49
	ds_read_b128 v[56:59], v49 offset:16
	v_add_co_u32_e32 v26, vcc, v26, v32
	v_addc_co_u32_e32 v27, vcc, 0, v27, vcc
	s_waitcnt lgkmcnt(1)
	v_fma_f64 v[52:53], v[0:1], v[52:53], 0
	v_fmac_f64_e32 v[52:53], v[2:3], v[54:55]
	s_waitcnt lgkmcnt(0)
	v_fmac_f64_e32 v[52:53], v[4:5], v[56:57]
	v_cmp_lt_u64_e32 vcc, 2, v[26:27]
	v_fmac_f64_e32 v[52:53], v[6:7], v[58:59]
	v_add_u32_e32 v49, v49, v48
	s_or_b64 s[30:31], vcc, s[30:31]
	ds_write_b64 v50, v[52:53]
	v_add_u32_e32 v50, v50, v33
	s_andn2_b64 exec, exec, s[30:31]
	s_cbranch_execnz .LBB1_59
	s_branch .LBB1_56
.LBB1_60:                               ;   in Loop: Header=BB1_15 Depth=1
	s_or_b64 exec, exec, s[20:21]
	s_waitcnt lgkmcnt(0)
	; wave barrier
	s_waitcnt lgkmcnt(0)
	s_and_saveexec_b64 s[20:21], s[2:3]
	s_cbranch_execz .LBB1_69
; %bb.61:                               ;   in Loop: Header=BB1_15 Depth=1
	s_load_dword s22, s[16:17], 0x4
	v_mov_b32_e32 v28, v36
	v_mov_b32_e32 v29, v46
	v_pk_mov_b32 v[22:23], v[8:9], v[8:9] op_sel:[0,1]
	s_waitcnt lgkmcnt(0)
	s_cmp_lt_u32 s14, s22
	s_cselect_b32 s22, 14, 20
	s_add_u32 s22, s16, s22
	s_addc_u32 s23, s17, 0
	global_load_ushort v0, v9, s[22:23]
	s_mov_b64 s[22:23], 0
	s_waitcnt vmcnt(0)
	v_and_b32_e32 v30, 0xffff, v0
	v_mul_lo_u32 v31, v30, 24
	s_branch .LBB1_63
.LBB1_62:                               ;   in Loop: Header=BB1_63 Depth=2
	s_or_b64 exec, exec, s[24:25]
	v_add_co_u32_e32 v22, vcc, s15, v22
	v_addc_co_u32_e32 v23, vcc, 0, v23, vcc
	v_cmp_lt_u64_e32 vcc, 3, v[22:23]
	v_add_u32_e32 v29, v29, v35
	s_or_b64 s[22:23], vcc, s[22:23]
	v_add_u32_e32 v28, v28, v38
	s_andn2_b64 exec, exec, s[22:23]
	s_cbranch_execz .LBB1_69
.LBB1_63:                               ;   Parent Loop BB1_15 Depth=1
                                        ; =>  This Loop Header: Depth=2
                                        ;       Child Loop BB1_66 Depth 3
                                        ;         Child Loop BB1_68 Depth 4
	s_and_saveexec_b64 s[24:25], s[4:5]
	s_cbranch_execz .LBB1_62
; %bb.64:                               ;   in Loop: Header=BB1_63 Depth=2
	s_load_dword s26, s[16:17], 0x0
	v_mov_b32_e32 v32, v29
	v_pk_mov_b32 v[24:25], v[10:11], v[10:11] op_sel:[0,1]
	s_waitcnt lgkmcnt(0)
	s_cmp_lt_u32 s6, s26
	s_cselect_b32 s26, 12, 18
	s_add_u32 s26, s16, s26
	s_addc_u32 s27, s17, 0
	global_load_ushort v0, v9, s[26:27]
	s_mov_b64 s[26:27], 0
	s_waitcnt vmcnt(0)
	v_and_b32_e32 v33, 0xffff, v0
	v_lshlrev_b32_e32 v48, 3, v33
	s_branch .LBB1_66
.LBB1_65:                               ;   in Loop: Header=BB1_66 Depth=3
	s_or_b64 exec, exec, s[28:29]
	v_add_co_u32_e32 v24, vcc, v24, v30
	v_addc_co_u32_e32 v25, vcc, 0, v25, vcc
	v_cmp_lt_u64_e32 vcc, 2, v[24:25]
	s_or_b64 s[26:27], vcc, s[26:27]
	v_add_u32_e32 v32, v32, v31
	s_andn2_b64 exec, exec, s[26:27]
	s_cbranch_execz .LBB1_62
.LBB1_66:                               ;   Parent Loop BB1_15 Depth=1
                                        ;     Parent Loop BB1_63 Depth=2
                                        ; =>    This Loop Header: Depth=3
                                        ;         Child Loop BB1_68 Depth 4
	s_and_saveexec_b64 s[28:29], s[8:9]
	s_cbranch_execz .LBB1_65
; %bb.67:                               ;   in Loop: Header=BB1_66 Depth=3
	v_lshlrev_b32_e32 v4, 5, v24
	ds_read_b128 v[0:3], v4 offset:1120
	ds_read_b128 v[4:7], v4 offset:1136
	s_mov_b64 s[30:31], 0
	v_mov_b32_e32 v49, 0
	v_pk_mov_b32 v[26:27], v[12:13], v[12:13] op_sel:[0,1]
.LBB1_68:                               ;   Parent Loop BB1_15 Depth=1
                                        ;     Parent Loop BB1_63 Depth=2
                                        ;       Parent Loop BB1_66 Depth=3
                                        ; =>      This Inner Loop Header: Depth=4
	v_add_u32_e32 v54, v28, v49
	ds_read2_b64 v[50:53], v54 offset1:3
	ds_read2_b64 v[54:57], v54 offset0:6 offset1:9
	v_add_co_u32_e32 v26, vcc, v26, v33
	v_addc_co_u32_e32 v27, vcc, 0, v27, vcc
	s_waitcnt lgkmcnt(1)
	v_fma_f64 v[50:51], v[0:1], v[50:51], 0
	v_fmac_f64_e32 v[50:51], v[2:3], v[52:53]
	v_cmp_lt_u64_e32 vcc, 2, v[26:27]
	s_waitcnt lgkmcnt(0)
	v_fmac_f64_e32 v[50:51], v[4:5], v[54:55]
	v_add_u32_e32 v58, v32, v49
	v_add_u32_e32 v49, v49, v48
	s_or_b64 s[30:31], vcc, s[30:31]
	v_fmac_f64_e32 v[50:51], v[6:7], v[56:57]
	ds_write_b64 v58, v[50:51]
	s_andn2_b64 exec, exec, s[30:31]
	s_cbranch_execnz .LBB1_68
	s_branch .LBB1_65
.LBB1_69:                               ;   in Loop: Header=BB1_15 Depth=1
	s_or_b64 exec, exec, s[20:21]
	s_waitcnt lgkmcnt(0)
	; wave barrier
	s_waitcnt lgkmcnt(0)
	s_and_saveexec_b64 s[20:21], s[0:1]
	s_cbranch_execz .LBB1_14
; %bb.70:                               ;   in Loop: Header=BB1_15 Depth=1
	s_load_dword s22, s[16:17], 0x4
	v_pk_mov_b32 v[22:23], v[20:21], v[20:21] op_sel:[0,1]
	v_pk_mov_b32 v[24:25], v[8:9], v[8:9] op_sel:[0,1]
	s_waitcnt lgkmcnt(0)
	s_cmp_lt_u32 s14, s22
	s_cselect_b32 s22, 14, 20
	s_add_u32 s22, s16, s22
	s_addc_u32 s23, s17, 0
	global_load_ushort v0, v9, s[22:23]
	s_mov_b64 s[22:23], 0
	s_waitcnt vmcnt(0)
	v_and_b32_e32 v48, 0xffff, v0
	v_mul_lo_u32 v49, v48, 24
	s_branch .LBB1_72
.LBB1_71:                               ;   in Loop: Header=BB1_72 Depth=2
	s_or_b64 exec, exec, s[24:25]
	v_add_co_u32_e32 v24, vcc, s15, v24
	v_addc_co_u32_e32 v25, vcc, 0, v25, vcc
	v_cmp_lt_u64_e32 vcc, 2, v[24:25]
	v_mov_b32_e32 v0, s35
	s_or_b64 s[22:23], vcc, s[22:23]
	v_add_co_u32_e32 v22, vcc, s34, v22
	v_addc_co_u32_e32 v23, vcc, v23, v0, vcc
	s_andn2_b64 exec, exec, s[22:23]
	s_cbranch_execz .LBB1_14
.LBB1_72:                               ;   Parent Loop BB1_15 Depth=1
                                        ; =>  This Loop Header: Depth=2
                                        ;       Child Loop BB1_75 Depth 3
                                        ;         Child Loop BB1_77 Depth 4
	s_and_saveexec_b64 s[24:25], s[4:5]
	s_cbranch_execz .LBB1_71
; %bb.73:                               ;   in Loop: Header=BB1_72 Depth=2
	s_load_dword s28, s[16:17], 0xc
	v_lshl_add_u32 v50, v24, 5, v44
	s_mov_b32 s38, s33
	s_mov_b64 s[26:27], 0
	v_mov_b32_e32 v51, v47
	s_waitcnt lgkmcnt(0)
	s_and_b32 s39, s28, 0xffff
	s_lshl_b32 s40, s39, 3
	v_pk_mov_b32 v[26:27], v[22:23], v[22:23] op_sel:[0,1]
	v_pk_mov_b32 v[28:29], v[10:11], v[10:11] op_sel:[0,1]
	s_branch .LBB1_75
.LBB1_74:                               ;   in Loop: Header=BB1_75 Depth=3
	s_or_b64 exec, exec, s[28:29]
	v_add_co_u32_e32 v28, vcc, v28, v48
	v_addc_co_u32_e32 v29, vcc, 0, v29, vcc
	v_add_co_u32_e32 v26, vcc, v26, v49
	v_addc_co_u32_e32 v27, vcc, 0, v27, vcc
	v_cmp_lt_u64_e32 vcc, 2, v[28:29]
	s_or_b64 s[26:27], vcc, s[26:27]
	v_add_u32_e32 v51, v51, v49
	s_andn2_b64 exec, exec, s[26:27]
	s_cbranch_execz .LBB1_71
.LBB1_75:                               ;   Parent Loop BB1_15 Depth=1
                                        ;     Parent Loop BB1_72 Depth=2
                                        ; =>    This Loop Header: Depth=3
                                        ;         Child Loop BB1_77 Depth 4
	s_and_saveexec_b64 s[28:29], s[8:9]
	s_cbranch_execz .LBB1_74
; %bb.76:                               ;   in Loop: Header=BB1_75 Depth=3
	ds_read_b128 v[0:3], v50
	ds_read_b128 v[4:7], v50 offset:16
	s_mov_b64 s[30:31], 0
	v_mov_b32_e32 v52, v51
	v_pk_mov_b32 v[30:31], v[26:27], v[26:27] op_sel:[0,1]
	v_pk_mov_b32 v[32:33], v[12:13], v[12:13] op_sel:[0,1]
.LBB1_77:                               ;   Parent Loop BB1_15 Depth=1
                                        ;     Parent Loop BB1_72 Depth=2
                                        ;       Parent Loop BB1_75 Depth=3
                                        ; =>      This Inner Loop Header: Depth=4
	ds_read2_b64 v[54:57], v52 offset1:9
	ds_read2_b64 v[58:61], v52 offset0:18 offset1:27
	v_mov_b32_e32 v53, s33
	v_add_co_u32_e32 v32, vcc, s39, v32
	s_waitcnt lgkmcnt(1)
	v_fma_f64 v[54:55], v[54:55], v[0:1], 0
	v_fmac_f64_e32 v[54:55], v[56:57], v[2:3]
	v_addc_co_u32_e32 v33, vcc, v33, v53, vcc
	s_waitcnt lgkmcnt(0)
	v_fmac_f64_e32 v[54:55], v[58:59], v[4:5]
	v_cmp_lt_u64_e32 vcc, 2, v[32:33]
	v_fmac_f64_e32 v[54:55], v[60:61], v[6:7]
	v_mov_b32_e32 v62, s38
	s_or_b64 s[30:31], vcc, s[30:31]
	global_store_dwordx2 v[30:31], v[54:55], off
	v_add_co_u32_e32 v30, vcc, s40, v30
	v_add_u32_e32 v52, s40, v52
	v_addc_co_u32_e32 v31, vcc, v31, v62, vcc
	s_andn2_b64 exec, exec, s[30:31]
	s_cbranch_execnz .LBB1_77
	s_branch .LBB1_74
.LBB1_78:
	s_endpgm
	.section	.rodata,"a",@progbits
	.p2align	6, 0x0
	.amdhsa_kernel _ZN4RAJA34launch_new_reduce_global_fcn_fixedIZN8rajaperf4apps11MASSVEC3DPA17runHipVariantImplILm64ELm0EEEvNS1_9VariantIDEEUlNS_14LaunchContextTINS_3hip33LaunchContextIndicesAndDimsPolicyINS7_14IndicesAndDimsILb0ELb0ELb0ELb0EEEEEEEE_Li64ENS_4expt15ForallParamPackIJEEEEEvT_T1_
		.amdhsa_group_segment_fixed_size 1216
		.amdhsa_private_segment_fixed_size 0
		.amdhsa_kernarg_size 304
		.amdhsa_user_sgpr_count 6
		.amdhsa_user_sgpr_private_segment_buffer 1
		.amdhsa_user_sgpr_dispatch_ptr 0
		.amdhsa_user_sgpr_queue_ptr 0
		.amdhsa_user_sgpr_kernarg_segment_ptr 1
		.amdhsa_user_sgpr_dispatch_id 0
		.amdhsa_user_sgpr_flat_scratch_init 0
		.amdhsa_user_sgpr_kernarg_preload_length 0
		.amdhsa_user_sgpr_kernarg_preload_offset 0
		.amdhsa_user_sgpr_private_segment_size 0
		.amdhsa_uses_dynamic_stack 0
		.amdhsa_system_sgpr_private_segment_wavefront_offset 0
		.amdhsa_system_sgpr_workgroup_id_x 1
		.amdhsa_system_sgpr_workgroup_id_y 1
		.amdhsa_system_sgpr_workgroup_id_z 0
		.amdhsa_system_sgpr_workgroup_info 0
		.amdhsa_system_vgpr_workitem_id 2
		.amdhsa_next_free_vgpr 63
		.amdhsa_next_free_sgpr 41
		.amdhsa_accum_offset 64
		.amdhsa_reserve_vcc 1
		.amdhsa_reserve_flat_scratch 0
		.amdhsa_float_round_mode_32 0
		.amdhsa_float_round_mode_16_64 0
		.amdhsa_float_denorm_mode_32 3
		.amdhsa_float_denorm_mode_16_64 3
		.amdhsa_dx10_clamp 1
		.amdhsa_ieee_mode 1
		.amdhsa_fp16_overflow 0
		.amdhsa_tg_split 0
		.amdhsa_exception_fp_ieee_invalid_op 0
		.amdhsa_exception_fp_denorm_src 0
		.amdhsa_exception_fp_ieee_div_zero 0
		.amdhsa_exception_fp_ieee_overflow 0
		.amdhsa_exception_fp_ieee_underflow 0
		.amdhsa_exception_fp_ieee_inexact 0
		.amdhsa_exception_int_div_zero 0
	.end_amdhsa_kernel
	.section	.text._ZN4RAJA34launch_new_reduce_global_fcn_fixedIZN8rajaperf4apps11MASSVEC3DPA17runHipVariantImplILm64ELm0EEEvNS1_9VariantIDEEUlNS_14LaunchContextTINS_3hip33LaunchContextIndicesAndDimsPolicyINS7_14IndicesAndDimsILb0ELb0ELb0ELb0EEEEEEEE_Li64ENS_4expt15ForallParamPackIJEEEEEvT_T1_,"axG",@progbits,_ZN4RAJA34launch_new_reduce_global_fcn_fixedIZN8rajaperf4apps11MASSVEC3DPA17runHipVariantImplILm64ELm0EEEvNS1_9VariantIDEEUlNS_14LaunchContextTINS_3hip33LaunchContextIndicesAndDimsPolicyINS7_14IndicesAndDimsILb0ELb0ELb0ELb0EEEEEEEE_Li64ENS_4expt15ForallParamPackIJEEEEEvT_T1_,comdat
.Lfunc_end1:
	.size	_ZN4RAJA34launch_new_reduce_global_fcn_fixedIZN8rajaperf4apps11MASSVEC3DPA17runHipVariantImplILm64ELm0EEEvNS1_9VariantIDEEUlNS_14LaunchContextTINS_3hip33LaunchContextIndicesAndDimsPolicyINS7_14IndicesAndDimsILb0ELb0ELb0ELb0EEEEEEEE_Li64ENS_4expt15ForallParamPackIJEEEEEvT_T1_, .Lfunc_end1-_ZN4RAJA34launch_new_reduce_global_fcn_fixedIZN8rajaperf4apps11MASSVEC3DPA17runHipVariantImplILm64ELm0EEEvNS1_9VariantIDEEUlNS_14LaunchContextTINS_3hip33LaunchContextIndicesAndDimsPolicyINS7_14IndicesAndDimsILb0ELb0ELb0ELb0EEEEEEEE_Li64ENS_4expt15ForallParamPackIJEEEEEvT_T1_
                                        ; -- End function
	.section	.AMDGPU.csdata,"",@progbits
; Kernel info:
; codeLenInByte = 3788
; NumSgprs: 45
; NumVgprs: 63
; NumAgprs: 0
; TotalNumVgprs: 63
; ScratchSize: 0
; MemoryBound: 0
; FloatMode: 240
; IeeeMode: 1
; LDSByteSize: 1216 bytes/workgroup (compile time only)
; SGPRBlocks: 5
; VGPRBlocks: 7
; NumSGPRsForWavesPerEU: 45
; NumVGPRsForWavesPerEU: 63
; AccumOffset: 64
; Occupancy: 8
; WaveLimiterHint : 0
; COMPUTE_PGM_RSRC2:SCRATCH_EN: 0
; COMPUTE_PGM_RSRC2:USER_SGPR: 6
; COMPUTE_PGM_RSRC2:TRAP_HANDLER: 0
; COMPUTE_PGM_RSRC2:TGID_X_EN: 1
; COMPUTE_PGM_RSRC2:TGID_Y_EN: 1
; COMPUTE_PGM_RSRC2:TGID_Z_EN: 0
; COMPUTE_PGM_RSRC2:TIDIG_COMP_CNT: 2
; COMPUTE_PGM_RSRC3_GFX90A:ACCUM_OFFSET: 15
; COMPUTE_PGM_RSRC3_GFX90A:TG_SPLIT: 0
	.section	.text._ZN8rajaperf4apps17MassVec3DPADirectILm64EEEvPdS2_S2_S2_,"axG",@progbits,_ZN8rajaperf4apps17MassVec3DPADirectILm64EEEvPdS2_S2_S2_,comdat
	.protected	_ZN8rajaperf4apps17MassVec3DPADirectILm64EEEvPdS2_S2_S2_ ; -- Begin function _ZN8rajaperf4apps17MassVec3DPADirectILm64EEEvPdS2_S2_S2_
	.globl	_ZN8rajaperf4apps17MassVec3DPADirectILm64EEEvPdS2_S2_S2_
	.p2align	8
	.type	_ZN8rajaperf4apps17MassVec3DPADirectILm64EEEvPdS2_S2_S2_,@function
_ZN8rajaperf4apps17MassVec3DPADirectILm64EEEvPdS2_S2_S2_: ; @_ZN8rajaperf4apps17MassVec3DPADirectILm64EEEvPdS2_S2_S2_
; %bb.0:
	v_bfe_u32 v6, v0, 20, 10
	v_cmp_ne_u32_e32 vcc, 0, v6
	v_bfe_u32 v10, v0, 10, 10
	s_and_saveexec_b64 s[0:1], vcc
	s_xor_b64 s[0:1], exec, s[0:1]
; %bb.1:
	v_bfe_u32 v10, v0, 10, 10
; %bb.2:
	s_or_saveexec_b64 s[0:1], s[0:1]
	s_load_dwordx8 s[8:15], s[4:5], 0x0
	s_xor_b64 exec, exec, s[0:1]
	s_cbranch_execz .LBB2_7
; %bb.3:
	v_cmp_gt_u32_e32 vcc, 3, v10
	s_and_saveexec_b64 s[2:3], vcc
	s_cbranch_execz .LBB2_6
; %bb.4:
	v_and_b32_e32 v1, 0x3ff, v0
	v_cmp_gt_u32_e32 vcc, 4, v1
	s_and_b64 exec, exec, vcc
	s_cbranch_execz .LBB2_6
; %bb.5:
	v_lshlrev_b32_e32 v4, 3, v1
	v_lshlrev_b32_e32 v5, 5, v10
	v_or_b32_e32 v2, v5, v4
	s_waitcnt lgkmcnt(0)
	global_load_dwordx2 v[2:3], v2, s[8:9]
	v_lshlrev_b32_e32 v7, 3, v10
	v_mad_u32_u24 v1, v1, 24, v7
	v_add_u32_e32 v4, v5, v4
	s_waitcnt vmcnt(0)
	ds_write_b64 v1, v[2:3] offset:1024
	ds_write_b64 v4, v[2:3] offset:1120
.LBB2_6:
	s_or_b64 exec, exec, s[2:3]
.LBB2_7:
	s_or_b64 exec, exec, s[0:1]
	v_mul_u32_u24_e32 v4, 24, v10
	v_and_b32_e32 v7, 0x3ff, v0
	s_waitcnt lgkmcnt(0)
	v_mov_b32_e32 v0, s13
	v_add_co_u32_e64 v1, s[4:5], s12, v4
	v_addc_co_u32_e64 v2, s[4:5], 0, v0, s[4:5]
	v_lshlrev_b32_e32 v9, 3, v7
	v_add_co_u32_e64 v0, s[4:5], v1, v9
	v_addc_co_u32_e64 v1, s[4:5], 0, v2, s[4:5]
	s_movk_i32 s4, 0x48
	v_mad_u64_u32 v[0:1], s[4:5], v6, s4, v[0:1]
	v_mov_b32_e32 v2, 0x288
	v_cmp_lt_u32_e64 s[0:1], 2, v10
	v_cmp_lt_u32_e64 s[2:3], 2, v7
	v_mad_u64_u32 v[0:1], s[4:5], s6, v2, v[0:1]
	v_cmp_lt_u32_e32 vcc, 2, v6
	s_or_b64 s[4:5], s[0:1], s[2:3]
	v_mul_u32_u24_e32 v5, 0x48, v6
	v_mul_lo_u32 v8, v10, 24
	s_or_b64 s[4:5], s[4:5], vcc
	s_mov_b32 s7, 0
	v_add3_u32 v16, v5, v8, v9
	s_xor_b64 s[8:9], s[4:5], -1
	s_and_saveexec_b64 s[4:5], s[8:9]
	s_cbranch_execz .LBB2_9
; %bb.8:
	global_load_dwordx2 v[2:3], v[0:1], off
	s_waitcnt vmcnt(0)
	ds_write_b64 v16, v[2:3]
.LBB2_9:
	s_or_b64 exec, exec, s[4:5]
	v_cmp_lt_u32_e64 s[4:5], 3, v7
	v_lshlrev_b32_e32 v11, 5, v10
	s_movk_i32 s12, 0x60
	s_or_b64 s[4:5], s[0:1], s[4:5]
	v_mad_u32_u24 v2, v6, s12, v11
	s_movk_i32 s12, 0x200
	s_or_b64 s[4:5], s[4:5], vcc
	v_add3_u32 v13, v2, v9, s12
	s_xor_b64 s[12:13], s[4:5], -1
	v_mul_u32_u24_e32 v14, 24, v7
	s_waitcnt lgkmcnt(0)
	; wave barrier
	s_waitcnt lgkmcnt(0)
	s_and_saveexec_b64 s[4:5], s[12:13]
	s_cbranch_execz .LBB2_11
; %bb.10:
	s_movk_i32 s16, 0x48
	v_mad_u32_u24 v2, v6, s16, v8
	ds_read2_b64 v[18:21], v14 offset0:128 offset1:129
	ds_read2_b64 v[22:25], v2 offset1:1
	ds_read_b64 v[2:3], v2 offset:16
	ds_read_b64 v[26:27], v14 offset:1040
	s_waitcnt lgkmcnt(2)
	v_fma_f64 v[18:19], v[22:23], v[18:19], 0
	v_fmac_f64_e32 v[18:19], v[24:25], v[20:21]
	s_waitcnt lgkmcnt(0)
	v_fmac_f64_e32 v[18:19], v[2:3], v[26:27]
	ds_write_b64 v13, v[18:19]
.LBB2_11:
	s_or_b64 exec, exec, s[4:5]
	v_or_b32_e32 v3, v10, v7
	v_lshlrev_b32_e32 v2, 7, v6
	v_cmp_gt_u32_e64 s[4:5], 4, v3
	s_xor_b64 s[16:17], vcc, -1
	v_add3_u32 v15, v2, v11, v9
	s_and_b64 s[16:17], s[16:17], s[4:5]
	s_waitcnt lgkmcnt(0)
	; wave barrier
	s_waitcnt lgkmcnt(0)
	s_and_saveexec_b64 s[4:5], s[16:17]
	s_cbranch_execz .LBB2_13
; %bb.12:
	s_movk_i32 s18, 0x60
	v_mad_u32_u24 v3, v6, s18, v9
	ds_read2_b64 v[18:21], v3 offset0:64 offset1:68
	ds_read2_b64 v[22:25], v8 offset0:128 offset1:129
	ds_read_b64 v[26:27], v3 offset:576
	ds_read_b64 v[28:29], v8 offset:1040
	s_waitcnt lgkmcnt(2)
	v_fma_f64 v[18:19], v[18:19], v[22:23], 0
	v_fmac_f64_e32 v[18:19], v[20:21], v[24:25]
	s_waitcnt lgkmcnt(0)
	v_fmac_f64_e32 v[18:19], v[26:27], v[28:29]
	ds_write_b64 v15, v[18:19]
.LBB2_13:
	s_or_b64 exec, exec, s[4:5]
	v_lshlrev_b32_e32 v18, 2, v10
	v_mov_b32_e32 v19, 0
	v_mov_b32_e32 v3, s11
	v_add_co_u32_e32 v12, vcc, s10, v2
	v_addc_co_u32_e32 v17, vcc, 0, v3, vcc
	v_lshlrev_b64 v[2:3], 3, v[18:19]
	v_add_co_u32_e32 v2, vcc, v12, v2
	v_addc_co_u32_e32 v3, vcc, v17, v3, vcc
	s_lshl_b64 s[4:5], s[6:7], 9
	v_mov_b32_e32 v12, s5
	v_add_co_u32_e32 v2, vcc, s4, v2
	v_addc_co_u32_e32 v3, vcc, v3, v12, vcc
	v_add_co_u32_e32 v2, vcc, v2, v9
	v_or_b32_e32 v17, v6, v10
	v_addc_co_u32_e32 v3, vcc, 0, v3, vcc
	v_lshlrev_b32_e32 v12, 5, v6
	v_or_b32_e32 v18, v17, v7
	v_cmp_gt_u32_e32 vcc, 4, v18
	v_add_u32_e32 v18, v13, v12
	v_mul_u32_u24_e32 v19, 24, v6
	s_waitcnt lgkmcnt(0)
	; wave barrier
	s_waitcnt lgkmcnt(0)
	s_and_saveexec_b64 s[4:5], vcc
	s_cbranch_execz .LBB2_15
; %bb.14:
	global_load_dwordx2 v[28:29], v[2:3], off
	v_lshl_add_u32 v30, v10, 5, v9
	ds_read2_b64 v[20:23], v30 offset1:16
	ds_read2_b64 v[24:27], v19 offset0:128 offset1:129
	ds_read_b64 v[30:31], v30 offset:256
	ds_read_b64 v[32:33], v19 offset:1040
	s_waitcnt lgkmcnt(2)
	v_fma_f64 v[20:21], v[20:21], v[24:25], 0
	v_fmac_f64_e32 v[20:21], v[22:23], v[26:27]
	s_waitcnt lgkmcnt(0)
	v_fmac_f64_e32 v[20:21], v[30:31], v[32:33]
	s_waitcnt vmcnt(0)
	v_mul_f64 v[20:21], v[20:21], v[28:29]
	ds_write_b64 v18, v[20:21]
.LBB2_15:
	s_or_b64 exec, exec, s[4:5]
	s_mul_hi_u32 s10, s6, 0x288
	s_mul_i32 s11, s6, 0x288
	v_cmp_gt_u32_e64 s[4:5], 4, v17
	s_xor_b64 s[6:7], s[2:3], -1
	v_mul_hi_u32_u24_e32 v22, 0x48, v6
	s_and_b64 s[6:7], s[4:5], s[6:7]
	v_add_u32_e32 v17, v16, v19
	v_lshlrev_b32_e32 v21, 5, v7
	s_waitcnt lgkmcnt(0)
	; wave barrier
	s_waitcnt lgkmcnt(0)
	s_and_saveexec_b64 s[4:5], s[6:7]
	s_cbranch_execz .LBB2_17
; %bb.16:
	v_lshl_add_u32 v20, v6, 7, v11
	ds_read_b128 v[24:27], v21 offset:1120
	ds_read_b128 v[28:31], v20 offset:512
	ds_read_b128 v[32:35], v20 offset:528
	ds_read_b128 v[36:39], v21 offset:1136
	s_waitcnt lgkmcnt(2)
	v_fma_f64 v[24:25], v[28:29], v[24:25], 0
	v_fmac_f64_e32 v[24:25], v[30:31], v[26:27]
	s_waitcnt lgkmcnt(0)
	v_fmac_f64_e32 v[24:25], v[32:33], v[36:37]
	v_fmac_f64_e32 v[24:25], v[34:35], v[38:39]
	ds_write_b64 v17, v[24:25]
.LBB2_17:
	s_or_b64 exec, exec, s[4:5]
	v_cmp_lt_u32_e64 s[4:5], 3, v6
	s_movk_i32 s18, 0x48
	s_or_b64 s[0:1], s[4:5], s[0:1]
	v_mad_u32_u24 v20, v6, s18, v8
	s_movk_i32 s18, 0x200
	s_or_b64 s[0:1], s[0:1], s[2:3]
	v_add3_u32 v20, v20, v9, s18
	s_xor_b64 s[2:3], s[0:1], -1
	s_waitcnt lgkmcnt(0)
	; wave barrier
	s_waitcnt lgkmcnt(0)
	s_and_saveexec_b64 s[0:1], s[2:3]
	s_cbranch_execz .LBB2_19
; %bb.18:
	s_movk_i32 s4, 0x60
	v_mad_u32_u24 v23, v6, s4, v9
	ds_read2_b64 v[24:27], v23 offset1:3
	ds_read_b128 v[28:31], v11 offset:1120
	ds_read_b128 v[32:35], v11 offset:1136
	ds_read2_b64 v[36:39], v23 offset0:6 offset1:9
	s_waitcnt lgkmcnt(2)
	v_fma_f64 v[24:25], v[24:25], v[28:29], 0
	v_fmac_f64_e32 v[24:25], v[26:27], v[30:31]
	s_waitcnt lgkmcnt(0)
	v_fmac_f64_e32 v[24:25], v[36:37], v[32:33]
	v_fmac_f64_e32 v[24:25], v[38:39], v[34:35]
	ds_write_b64 v20, v[24:25]
.LBB2_19:
	s_or_b64 exec, exec, s[0:1]
	v_mov_b32_e32 v23, s15
	v_add_co_u32_e64 v4, s[0:1], s14, v4
	v_addc_co_u32_e64 v23, s[0:1], 0, v23, s[0:1]
	v_add_co_u32_e64 v4, s[0:1], v4, v9
	v_addc_co_u32_e64 v23, s[0:1], 0, v23, s[0:1]
	;; [unrolled: 2-line block ×3, first 2 shown]
	v_mov_b32_e32 v22, s10
	v_add_co_u32_e64 v4, s[0:1], s11, v4
	v_addc_co_u32_e64 v5, s[0:1], v5, v22, s[0:1]
	s_waitcnt lgkmcnt(0)
	; wave barrier
	s_waitcnt lgkmcnt(0)
	s_and_saveexec_b64 s[0:1], s[8:9]
	s_cbranch_execz .LBB2_21
; %bb.20:
	v_lshl_add_u32 v34, v7, 3, v8
	ds_read2_b64 v[22:25], v34 offset0:64 offset1:73
	ds_read_b128 v[26:29], v12 offset:1120
	ds_read_b128 v[30:33], v12 offset:1136
	ds_read2_b64 v[34:37], v34 offset0:82 offset1:91
	s_waitcnt lgkmcnt(2)
	v_fma_f64 v[22:23], v[22:23], v[26:27], 0
	v_fmac_f64_e32 v[22:23], v[24:25], v[28:29]
	s_waitcnt lgkmcnt(0)
	v_fmac_f64_e32 v[22:23], v[34:35], v[30:31]
	v_fmac_f64_e32 v[22:23], v[36:37], v[32:33]
	global_store_dwordx2 v[4:5], v[22:23], off
.LBB2_21:
	s_or_b64 exec, exec, s[0:1]
	s_waitcnt lgkmcnt(0)
	; wave barrier
	s_and_saveexec_b64 s[0:1], s[8:9]
	s_cbranch_execz .LBB2_23
; %bb.22:
	global_load_dwordx2 v[22:23], v[0:1], off offset:216
	s_waitcnt vmcnt(0)
	ds_write_b64 v16, v[22:23]
.LBB2_23:
	s_or_b64 exec, exec, s[0:1]
	s_waitcnt lgkmcnt(0)
	; wave barrier
	s_waitcnt lgkmcnt(0)
	s_and_saveexec_b64 s[0:1], s[12:13]
	s_cbranch_execz .LBB2_25
; %bb.24:
	s_movk_i32 s4, 0x48
	v_mad_u32_u24 v30, v6, s4, v8
	ds_read2_b64 v[22:25], v14 offset0:128 offset1:129
	ds_read2_b64 v[26:29], v30 offset1:1
	ds_read_b64 v[30:31], v30 offset:16
	ds_read_b64 v[32:33], v14 offset:1040
	s_waitcnt lgkmcnt(2)
	v_fma_f64 v[22:23], v[26:27], v[22:23], 0
	v_fmac_f64_e32 v[22:23], v[28:29], v[24:25]
	s_waitcnt lgkmcnt(0)
	v_fmac_f64_e32 v[22:23], v[30:31], v[32:33]
	ds_write_b64 v13, v[22:23]
.LBB2_25:
	s_or_b64 exec, exec, s[0:1]
	s_waitcnt lgkmcnt(0)
	; wave barrier
	s_waitcnt lgkmcnt(0)
	s_and_saveexec_b64 s[0:1], s[16:17]
	s_cbranch_execz .LBB2_27
; %bb.26:
	s_movk_i32 s4, 0x60
	v_mad_u32_u24 v30, v6, s4, v9
	ds_read2_b64 v[22:25], v30 offset0:64 offset1:68
	ds_read2_b64 v[26:29], v8 offset0:128 offset1:129
	ds_read_b64 v[30:31], v30 offset:576
	ds_read_b64 v[32:33], v8 offset:1040
	s_waitcnt lgkmcnt(2)
	v_fma_f64 v[22:23], v[22:23], v[26:27], 0
	v_fmac_f64_e32 v[22:23], v[24:25], v[28:29]
	s_waitcnt lgkmcnt(0)
	v_fmac_f64_e32 v[22:23], v[30:31], v[32:33]
	ds_write_b64 v15, v[22:23]
.LBB2_27:
	s_or_b64 exec, exec, s[0:1]
	s_waitcnt lgkmcnt(0)
	; wave barrier
	s_waitcnt lgkmcnt(0)
	s_and_saveexec_b64 s[0:1], vcc
	s_cbranch_execz .LBB2_29
; %bb.28:
	global_load_dwordx2 v[30:31], v[2:3], off
	v_lshl_add_u32 v32, v10, 5, v9
	ds_read2_b64 v[22:25], v32 offset1:16
	ds_read2_b64 v[26:29], v19 offset0:128 offset1:129
	ds_read_b64 v[32:33], v32 offset:256
	ds_read_b64 v[34:35], v19 offset:1040
	s_waitcnt lgkmcnt(2)
	v_fma_f64 v[22:23], v[22:23], v[26:27], 0
	v_fmac_f64_e32 v[22:23], v[24:25], v[28:29]
	s_waitcnt lgkmcnt(0)
	v_fmac_f64_e32 v[22:23], v[32:33], v[34:35]
	s_waitcnt vmcnt(0)
	v_mul_f64 v[22:23], v[22:23], v[30:31]
	ds_write_b64 v18, v[22:23]
.LBB2_29:
	s_or_b64 exec, exec, s[0:1]
	s_waitcnt lgkmcnt(0)
	; wave barrier
	s_waitcnt lgkmcnt(0)
	s_and_saveexec_b64 s[0:1], s[6:7]
	s_cbranch_execz .LBB2_31
; %bb.30:
	v_lshl_add_u32 v30, v6, 7, v11
	ds_read_b128 v[22:25], v21 offset:1120
	ds_read_b128 v[26:29], v30 offset:512
	;; [unrolled: 1-line block ×4, first 2 shown]
	s_waitcnt lgkmcnt(2)
	v_fma_f64 v[22:23], v[26:27], v[22:23], 0
	v_fmac_f64_e32 v[22:23], v[28:29], v[24:25]
	s_waitcnt lgkmcnt(0)
	v_fmac_f64_e32 v[22:23], v[30:31], v[34:35]
	v_fmac_f64_e32 v[22:23], v[32:33], v[36:37]
	ds_write_b64 v17, v[22:23]
.LBB2_31:
	s_or_b64 exec, exec, s[0:1]
	s_waitcnt lgkmcnt(0)
	; wave barrier
	s_waitcnt lgkmcnt(0)
	s_and_saveexec_b64 s[0:1], s[2:3]
	s_cbranch_execz .LBB2_33
; %bb.32:
	s_movk_i32 s4, 0x60
	v_mad_u32_u24 v34, v6, s4, v9
	ds_read2_b64 v[22:25], v34 offset1:3
	ds_read_b128 v[26:29], v11 offset:1120
	ds_read_b128 v[30:33], v11 offset:1136
	ds_read2_b64 v[34:37], v34 offset0:6 offset1:9
	s_waitcnt lgkmcnt(2)
	v_fma_f64 v[22:23], v[22:23], v[26:27], 0
	v_fmac_f64_e32 v[22:23], v[24:25], v[28:29]
	s_waitcnt lgkmcnt(0)
	v_fmac_f64_e32 v[22:23], v[34:35], v[30:31]
	v_fmac_f64_e32 v[22:23], v[36:37], v[32:33]
	ds_write_b64 v20, v[22:23]
.LBB2_33:
	s_or_b64 exec, exec, s[0:1]
	s_waitcnt lgkmcnt(0)
	; wave barrier
	s_waitcnt lgkmcnt(0)
	s_and_saveexec_b64 s[0:1], s[8:9]
	s_cbranch_execz .LBB2_35
; %bb.34:
	v_lshl_add_u32 v34, v7, 3, v8
	ds_read2_b64 v[22:25], v34 offset0:64 offset1:73
	ds_read_b128 v[26:29], v12 offset:1120
	ds_read_b128 v[30:33], v12 offset:1136
	ds_read2_b64 v[34:37], v34 offset0:82 offset1:91
	s_waitcnt lgkmcnt(2)
	v_fma_f64 v[22:23], v[22:23], v[26:27], 0
	v_fmac_f64_e32 v[22:23], v[24:25], v[28:29]
	s_waitcnt lgkmcnt(0)
	v_fmac_f64_e32 v[22:23], v[34:35], v[30:31]
	v_fmac_f64_e32 v[22:23], v[36:37], v[32:33]
	global_store_dwordx2 v[4:5], v[22:23], off offset:216
.LBB2_35:
	s_or_b64 exec, exec, s[0:1]
	s_waitcnt lgkmcnt(0)
	; wave barrier
	s_and_saveexec_b64 s[0:1], s[8:9]
	s_cbranch_execz .LBB2_37
; %bb.36:
	global_load_dwordx2 v[0:1], v[0:1], off offset:432
	s_waitcnt vmcnt(0)
	ds_write_b64 v16, v[0:1]
.LBB2_37:
	s_or_b64 exec, exec, s[0:1]
	s_waitcnt lgkmcnt(0)
	; wave barrier
	s_waitcnt lgkmcnt(0)
	s_and_saveexec_b64 s[0:1], s[12:13]
	s_cbranch_execz .LBB2_39
; %bb.38:
	s_movk_i32 s4, 0x48
	v_mad_u32_u24 v0, v6, s4, v8
	ds_read2_b64 v[22:25], v14 offset0:128 offset1:129
	ds_read2_b64 v[26:29], v0 offset1:1
	ds_read_b64 v[0:1], v0 offset:16
	ds_read_b64 v[30:31], v14 offset:1040
	s_waitcnt lgkmcnt(2)
	v_fma_f64 v[22:23], v[26:27], v[22:23], 0
	v_fmac_f64_e32 v[22:23], v[28:29], v[24:25]
	s_waitcnt lgkmcnt(0)
	v_fmac_f64_e32 v[22:23], v[0:1], v[30:31]
	ds_write_b64 v13, v[22:23]
.LBB2_39:
	s_or_b64 exec, exec, s[0:1]
	s_waitcnt lgkmcnt(0)
	; wave barrier
	s_waitcnt lgkmcnt(0)
	s_and_saveexec_b64 s[0:1], s[16:17]
	s_cbranch_execz .LBB2_41
; %bb.40:
	s_movk_i32 s4, 0x60
	v_mad_u32_u24 v0, v6, s4, v9
	ds_read2_b64 v[22:25], v0 offset0:64 offset1:68
	ds_read2_b64 v[26:29], v8 offset0:128 offset1:129
	ds_read_b64 v[0:1], v0 offset:576
	ds_read_b64 v[30:31], v8 offset:1040
	s_waitcnt lgkmcnt(2)
	v_fma_f64 v[22:23], v[22:23], v[26:27], 0
	v_fmac_f64_e32 v[22:23], v[24:25], v[28:29]
	s_waitcnt lgkmcnt(0)
	v_fmac_f64_e32 v[22:23], v[0:1], v[30:31]
	ds_write_b64 v15, v[22:23]
.LBB2_41:
	s_or_b64 exec, exec, s[0:1]
	s_waitcnt lgkmcnt(0)
	; wave barrier
	s_waitcnt lgkmcnt(0)
	s_and_saveexec_b64 s[0:1], vcc
	s_cbranch_execz .LBB2_43
; %bb.42:
	global_load_dwordx2 v[14:15], v[2:3], off
	v_lshl_add_u32 v10, v10, 5, v9
	ds_read2_b64 v[0:3], v10 offset1:16
	ds_read2_b64 v[22:25], v19 offset0:128 offset1:129
	ds_read_b64 v[26:27], v10 offset:256
	ds_read_b64 v[28:29], v19 offset:1040
	s_waitcnt lgkmcnt(2)
	v_fma_f64 v[0:1], v[0:1], v[22:23], 0
	v_fmac_f64_e32 v[0:1], v[2:3], v[24:25]
	s_waitcnt lgkmcnt(0)
	v_fmac_f64_e32 v[0:1], v[26:27], v[28:29]
	s_waitcnt vmcnt(0)
	v_mul_f64 v[0:1], v[0:1], v[14:15]
	ds_write_b64 v18, v[0:1]
.LBB2_43:
	s_or_b64 exec, exec, s[0:1]
	s_waitcnt lgkmcnt(0)
	; wave barrier
	s_waitcnt lgkmcnt(0)
	s_and_saveexec_b64 s[0:1], s[6:7]
	s_cbranch_execz .LBB2_45
; %bb.44:
	v_lshl_add_u32 v10, v6, 7, v11
	ds_read_b128 v[0:3], v21 offset:1120
	ds_read_b128 v[22:25], v10 offset:512
	;; [unrolled: 1-line block ×4, first 2 shown]
	s_waitcnt lgkmcnt(2)
	v_fma_f64 v[0:1], v[22:23], v[0:1], 0
	v_fmac_f64_e32 v[0:1], v[24:25], v[2:3]
	s_waitcnt lgkmcnt(0)
	v_fmac_f64_e32 v[0:1], v[26:27], v[30:31]
	v_fmac_f64_e32 v[0:1], v[28:29], v[32:33]
	ds_write_b64 v17, v[0:1]
.LBB2_45:
	s_or_b64 exec, exec, s[0:1]
	s_waitcnt lgkmcnt(0)
	; wave barrier
	s_waitcnt lgkmcnt(0)
	s_and_saveexec_b64 s[0:1], s[2:3]
	s_cbranch_execz .LBB2_47
; %bb.46:
	s_movk_i32 s2, 0x60
	v_mad_u32_u24 v6, v6, s2, v9
	ds_read2_b64 v[0:3], v6 offset1:3
	ds_read_b128 v[14:17], v11 offset:1120
	ds_read_b128 v[22:25], v11 offset:1136
	ds_read2_b64 v[26:29], v6 offset0:6 offset1:9
	s_waitcnt lgkmcnt(2)
	v_fma_f64 v[0:1], v[0:1], v[14:15], 0
	v_fmac_f64_e32 v[0:1], v[2:3], v[16:17]
	s_waitcnt lgkmcnt(0)
	v_fmac_f64_e32 v[0:1], v[26:27], v[22:23]
	v_fmac_f64_e32 v[0:1], v[28:29], v[24:25]
	ds_write_b64 v20, v[0:1]
.LBB2_47:
	s_or_b64 exec, exec, s[0:1]
	s_waitcnt lgkmcnt(0)
	; wave barrier
	s_waitcnt lgkmcnt(0)
	s_and_saveexec_b64 s[0:1], s[8:9]
	s_cbranch_execz .LBB2_49
; %bb.48:
	v_lshl_add_u32 v14, v7, 3, v8
	ds_read2_b64 v[0:3], v14 offset0:64 offset1:73
	ds_read_b128 v[6:9], v12 offset:1120
	ds_read_b128 v[10:13], v12 offset:1136
	ds_read2_b64 v[14:17], v14 offset0:82 offset1:91
	s_waitcnt lgkmcnt(2)
	v_fma_f64 v[0:1], v[0:1], v[6:7], 0
	v_fmac_f64_e32 v[0:1], v[2:3], v[8:9]
	s_waitcnt lgkmcnt(0)
	v_fmac_f64_e32 v[0:1], v[14:15], v[10:11]
	v_fmac_f64_e32 v[0:1], v[16:17], v[12:13]
	global_store_dwordx2 v[4:5], v[0:1], off offset:432
.LBB2_49:
	s_or_b64 exec, exec, s[0:1]
	s_waitcnt lgkmcnt(0)
	; wave barrier
	s_endpgm
	.section	.rodata,"a",@progbits
	.p2align	6, 0x0
	.amdhsa_kernel _ZN8rajaperf4apps17MassVec3DPADirectILm64EEEvPdS2_S2_S2_
		.amdhsa_group_segment_fixed_size 1216
		.amdhsa_private_segment_fixed_size 0
		.amdhsa_kernarg_size 32
		.amdhsa_user_sgpr_count 6
		.amdhsa_user_sgpr_private_segment_buffer 1
		.amdhsa_user_sgpr_dispatch_ptr 0
		.amdhsa_user_sgpr_queue_ptr 0
		.amdhsa_user_sgpr_kernarg_segment_ptr 1
		.amdhsa_user_sgpr_dispatch_id 0
		.amdhsa_user_sgpr_flat_scratch_init 0
		.amdhsa_user_sgpr_kernarg_preload_length 0
		.amdhsa_user_sgpr_kernarg_preload_offset 0
		.amdhsa_user_sgpr_private_segment_size 0
		.amdhsa_uses_dynamic_stack 0
		.amdhsa_system_sgpr_private_segment_wavefront_offset 0
		.amdhsa_system_sgpr_workgroup_id_x 1
		.amdhsa_system_sgpr_workgroup_id_y 0
		.amdhsa_system_sgpr_workgroup_id_z 0
		.amdhsa_system_sgpr_workgroup_info 0
		.amdhsa_system_vgpr_workitem_id 2
		.amdhsa_next_free_vgpr 40
		.amdhsa_next_free_sgpr 19
		.amdhsa_accum_offset 40
		.amdhsa_reserve_vcc 1
		.amdhsa_reserve_flat_scratch 0
		.amdhsa_float_round_mode_32 0
		.amdhsa_float_round_mode_16_64 0
		.amdhsa_float_denorm_mode_32 3
		.amdhsa_float_denorm_mode_16_64 3
		.amdhsa_dx10_clamp 1
		.amdhsa_ieee_mode 1
		.amdhsa_fp16_overflow 0
		.amdhsa_tg_split 0
		.amdhsa_exception_fp_ieee_invalid_op 0
		.amdhsa_exception_fp_denorm_src 0
		.amdhsa_exception_fp_ieee_div_zero 0
		.amdhsa_exception_fp_ieee_overflow 0
		.amdhsa_exception_fp_ieee_underflow 0
		.amdhsa_exception_fp_ieee_inexact 0
		.amdhsa_exception_int_div_zero 0
	.end_amdhsa_kernel
	.section	.text._ZN8rajaperf4apps17MassVec3DPADirectILm64EEEvPdS2_S2_S2_,"axG",@progbits,_ZN8rajaperf4apps17MassVec3DPADirectILm64EEEvPdS2_S2_S2_,comdat
.Lfunc_end2:
	.size	_ZN8rajaperf4apps17MassVec3DPADirectILm64EEEvPdS2_S2_S2_, .Lfunc_end2-_ZN8rajaperf4apps17MassVec3DPADirectILm64EEEvPdS2_S2_S2_
                                        ; -- End function
	.section	.AMDGPU.csdata,"",@progbits
; Kernel info:
; codeLenInByte = 2532
; NumSgprs: 23
; NumVgprs: 40
; NumAgprs: 0
; TotalNumVgprs: 40
; ScratchSize: 0
; MemoryBound: 1
; FloatMode: 240
; IeeeMode: 1
; LDSByteSize: 1216 bytes/workgroup (compile time only)
; SGPRBlocks: 2
; VGPRBlocks: 4
; NumSGPRsForWavesPerEU: 23
; NumVGPRsForWavesPerEU: 40
; AccumOffset: 40
; Occupancy: 8
; WaveLimiterHint : 0
; COMPUTE_PGM_RSRC2:SCRATCH_EN: 0
; COMPUTE_PGM_RSRC2:USER_SGPR: 6
; COMPUTE_PGM_RSRC2:TRAP_HANDLER: 0
; COMPUTE_PGM_RSRC2:TGID_X_EN: 1
; COMPUTE_PGM_RSRC2:TGID_Y_EN: 0
; COMPUTE_PGM_RSRC2:TGID_Z_EN: 0
; COMPUTE_PGM_RSRC2:TIDIG_COMP_CNT: 2
; COMPUTE_PGM_RSRC3_GFX90A:ACCUM_OFFSET: 9
; COMPUTE_PGM_RSRC3_GFX90A:TG_SPLIT: 0
	.section	.text._ZN4RAJA34launch_new_reduce_global_fcn_fixedIZN8rajaperf4apps11MASSVEC3DPA17runHipVariantImplILm64ELm1EEEvNS1_9VariantIDEEUlNS_14LaunchContextTINS_3hip33LaunchContextIndicesAndDimsPolicyINS7_14IndicesAndDimsILb0ELb0ELb0ELb0EEEEEEEE_Li64ENS_4expt15ForallParamPackIJEEEEEvT_T1_,"axG",@progbits,_ZN4RAJA34launch_new_reduce_global_fcn_fixedIZN8rajaperf4apps11MASSVEC3DPA17runHipVariantImplILm64ELm1EEEvNS1_9VariantIDEEUlNS_14LaunchContextTINS_3hip33LaunchContextIndicesAndDimsPolicyINS7_14IndicesAndDimsILb0ELb0ELb0ELb0EEEEEEEE_Li64ENS_4expt15ForallParamPackIJEEEEEvT_T1_,comdat
	.protected	_ZN4RAJA34launch_new_reduce_global_fcn_fixedIZN8rajaperf4apps11MASSVEC3DPA17runHipVariantImplILm64ELm1EEEvNS1_9VariantIDEEUlNS_14LaunchContextTINS_3hip33LaunchContextIndicesAndDimsPolicyINS7_14IndicesAndDimsILb0ELb0ELb0ELb0EEEEEEEE_Li64ENS_4expt15ForallParamPackIJEEEEEvT_T1_ ; -- Begin function _ZN4RAJA34launch_new_reduce_global_fcn_fixedIZN8rajaperf4apps11MASSVEC3DPA17runHipVariantImplILm64ELm1EEEvNS1_9VariantIDEEUlNS_14LaunchContextTINS_3hip33LaunchContextIndicesAndDimsPolicyINS7_14IndicesAndDimsILb0ELb0ELb0ELb0EEEEEEEE_Li64ENS_4expt15ForallParamPackIJEEEEEvT_T1_
	.globl	_ZN4RAJA34launch_new_reduce_global_fcn_fixedIZN8rajaperf4apps11MASSVEC3DPA17runHipVariantImplILm64ELm1EEEvNS1_9VariantIDEEUlNS_14LaunchContextTINS_3hip33LaunchContextIndicesAndDimsPolicyINS7_14IndicesAndDimsILb0ELb0ELb0ELb0EEEEEEEE_Li64ENS_4expt15ForallParamPackIJEEEEEvT_T1_
	.p2align	8
	.type	_ZN4RAJA34launch_new_reduce_global_fcn_fixedIZN8rajaperf4apps11MASSVEC3DPA17runHipVariantImplILm64ELm1EEEvNS1_9VariantIDEEUlNS_14LaunchContextTINS_3hip33LaunchContextIndicesAndDimsPolicyINS7_14IndicesAndDimsILb0ELb0ELb0ELb0EEEEEEEE_Li64ENS_4expt15ForallParamPackIJEEEEEvT_T1_,@function
_ZN4RAJA34launch_new_reduce_global_fcn_fixedIZN8rajaperf4apps11MASSVEC3DPA17runHipVariantImplILm64ELm1EEEvNS1_9VariantIDEEUlNS_14LaunchContextTINS_3hip33LaunchContextIndicesAndDimsPolicyINS7_14IndicesAndDimsILb0ELb0ELb0ELb0EEEEEEEE_Li64ENS_4expt15ForallParamPackIJEEEEEvT_T1_: ; @_ZN4RAJA34launch_new_reduce_global_fcn_fixedIZN8rajaperf4apps11MASSVEC3DPA17runHipVariantImplILm64ELm1EEEvNS1_9VariantIDEEUlNS_14LaunchContextTINS_3hip33LaunchContextIndicesAndDimsPolicyINS7_14IndicesAndDimsILb0ELb0ELb0ELb0EEEEEEEE_Li64ENS_4expt15ForallParamPackIJEEEEEvT_T1_
; %bb.0:
	s_load_dwordx8 s[8:15], s[4:5], 0x0
	s_mov_b32 s7, 0
	v_pk_mov_b32 v[2:3], s[6:7], s[6:7] op_sel:[0,1]
	s_waitcnt lgkmcnt(0)
	v_cmp_le_i64_e32 vcc, s[8:9], v[2:3]
	s_cbranch_vccnz .LBB3_51
; %bb.1:
	s_load_dwordx2 s[8:9], s[4:5], 0x20
	v_bfe_u32 v25, v0, 20, 10
	v_cmp_ne_u32_e32 vcc, 0, v25
	v_bfe_u32 v4, v0, 10, 10
	s_and_saveexec_b64 s[0:1], vcc
	s_xor_b64 s[0:1], exec, s[0:1]
; %bb.2:
	v_bfe_u32 v4, v0, 10, 10
; %bb.3:
	s_andn2_saveexec_b64 s[0:1], s[0:1]
	s_cbranch_execz .LBB3_8
; %bb.4:
	v_cmp_gt_u32_e32 vcc, 3, v4
	s_and_saveexec_b64 s[2:3], vcc
	s_cbranch_execz .LBB3_7
; %bb.5:
	v_and_b32_e32 v1, 0x3ff, v0
	v_cmp_gt_u32_e32 vcc, 4, v1
	s_and_b64 exec, exec, vcc
	s_cbranch_execz .LBB3_7
; %bb.6:
	v_lshlrev_b32_e32 v6, 5, v4
	v_mov_b32_e32 v2, s11
	v_add_co_u32_e32 v3, vcc, s10, v6
	v_lshlrev_b32_e32 v5, 3, v1
	v_addc_co_u32_e32 v7, vcc, 0, v2, vcc
	v_add_co_u32_e32 v2, vcc, v3, v5
	v_addc_co_u32_e32 v3, vcc, 0, v7, vcc
	global_load_dwordx2 v[2:3], v[2:3], off
	v_lshlrev_b32_e32 v7, 3, v4
	v_mad_u32_u24 v1, v1, 24, v7
	v_add_u32_e32 v5, v6, v5
	s_waitcnt vmcnt(0)
	ds_write_b64 v1, v[2:3] offset:1024
	ds_write_b64 v5, v[2:3] offset:1120
.LBB3_7:
	s_or_b64 exec, exec, s[2:3]
.LBB3_8:
	s_or_b64 exec, exec, s[0:1]
	v_and_b32_e32 v21, 0x3ff, v0
	v_cmp_lt_u32_e64 s[0:1], 2, v4
	v_cmp_lt_u32_e64 s[2:3], 2, v21
	v_cmp_lt_u32_e32 vcc, 2, v25
	s_or_b64 s[4:5], s[2:3], s[0:1]
	v_mul_u32_u24_e32 v8, 0x48, v25
	v_mul_lo_u32 v24, v4, 24
	v_lshlrev_b32_e32 v10, 3, v21
	s_or_b64 s[4:5], vcc, s[4:5]
	v_mul_hi_u32_u24_e32 v7, 24, v4
	v_mul_u32_u24_e32 v9, 24, v4
	s_movk_i32 s18, 0x48
	v_mul_hi_u32_u24_e32 v6, 0x48, v25
	s_mul_hi_u32 s22, s6, 0x288
	s_mul_i32 s23, s6, 0x288
	v_add3_u32 v14, v8, v24, v10
	s_xor_b64 s[10:11], s[4:5], -1
	s_and_saveexec_b64 s[16:17], s[10:11]
	s_cbranch_execz .LBB3_10
; %bb.9:
	v_mov_b32_e32 v0, s13
	v_add_co_u32_e64 v1, s[4:5], s12, v9
	v_addc_co_u32_e64 v0, s[4:5], v0, v7, s[4:5]
	v_add_co_u32_e64 v1, s[4:5], v1, v10
	v_addc_co_u32_e64 v0, s[4:5], 0, v0, s[4:5]
	;; [unrolled: 2-line block ×3, first 2 shown]
	v_mov_b32_e32 v3, s22
	v_add_co_u32_e64 v0, s[4:5], s23, v1
	v_addc_co_u32_e64 v1, s[4:5], v2, v3, s[4:5]
	global_load_dwordx2 v[0:1], v[0:1], off
	s_waitcnt vmcnt(0)
	ds_write_b64 v14, v[0:1]
.LBB3_10:
	s_or_b64 exec, exec, s[16:17]
	v_cmp_lt_u32_e64 s[4:5], 3, v21
	v_mov_b32_e32 v0, 0x400
	v_lshlrev_b32_e32 v20, 5, v4
	s_movk_i32 s16, 0x60
	s_or_b64 s[4:5], s[4:5], s[0:1]
	v_mad_u32_u24 v11, v25, s18, v24
	v_mad_u32_u24 v12, v21, 24, v0
	;; [unrolled: 1-line block ×3, first 2 shown]
	s_movk_i32 s18, 0x200
	s_or_b64 s[4:5], vcc, s[4:5]
	v_add3_u32 v13, v0, v10, s18
	s_xor_b64 s[16:17], s[4:5], -1
	s_waitcnt lgkmcnt(0)
	; wave barrier
	s_waitcnt lgkmcnt(0)
	s_and_saveexec_b64 s[4:5], s[16:17]
	s_cbranch_execz .LBB3_12
; %bb.11:
	ds_read2_b64 v[0:3], v12 offset1:1
	ds_read2_b64 v[16:19], v11 offset1:1
	ds_read_b64 v[22:23], v11 offset:16
	ds_read_b64 v[26:27], v12 offset:16
	s_waitcnt lgkmcnt(2)
	v_fma_f64 v[0:1], v[16:17], v[0:1], 0
	v_fmac_f64_e32 v[0:1], v[18:19], v[2:3]
	s_waitcnt lgkmcnt(0)
	v_fmac_f64_e32 v[0:1], v[22:23], v[26:27]
	ds_write_b64 v13, v[0:1]
.LBB3_12:
	s_or_b64 exec, exec, s[4:5]
	v_mul_u32_u24_e32 v0, 0x60, v25
	v_add3_u32 v19, v0, v10, s18
	v_mov_b32_e32 v0, 0x400
	v_mov_b32_e32 v1, 0
	v_mad_u64_u32 v[0:1], s[4:5], v4, 24, v[0:1]
	v_or_b32_e32 v2, v4, v21
	v_lshlrev_b32_e32 v1, 7, v25
	v_cmp_gt_u32_e64 s[4:5], 4, v2
	s_xor_b64 s[18:19], vcc, -1
	v_add3_u32 v17, v1, v20, v10
	s_and_b64 s[18:19], s[18:19], s[4:5]
	s_waitcnt lgkmcnt(0)
	; wave barrier
	s_waitcnt lgkmcnt(0)
	s_and_saveexec_b64 s[4:5], s[18:19]
	s_cbranch_execz .LBB3_14
; %bb.13:
	ds_read2_b64 v[26:29], v19 offset1:4
	ds_read2_b64 v[30:33], v0 offset1:1
	ds_read_b64 v[2:3], v19 offset:64
	ds_read_b64 v[22:23], v0 offset:16
	s_waitcnt lgkmcnt(2)
	v_fma_f64 v[26:27], v[26:27], v[30:31], 0
	v_fmac_f64_e32 v[26:27], v[28:29], v[32:33]
	s_waitcnt lgkmcnt(0)
	v_fmac_f64_e32 v[26:27], v[2:3], v[22:23]
	ds_write_b64 v17, v[26:27]
.LBB3_14:
	s_or_b64 exec, exec, s[4:5]
	v_mov_b32_e32 v5, 0
	v_mov_b32_e32 v2, 0x400
	v_or_b32_e32 v22, v4, v25
	v_mad_u32_u24 v16, v25, 24, v2
	v_lshlrev_b64 v[2:3], 5, v[4:5]
	v_lshlrev_b32_e32 v5, 5, v25
	v_or_b32_e32 v18, v22, v21
	v_lshl_add_u32 v15, v4, 5, v10
	s_lshl_b64 s[6:7], s[6:7], 9
	v_cmp_gt_u32_e32 vcc, 4, v18
	v_add_u32_e32 v18, v13, v5
	s_waitcnt lgkmcnt(0)
	; wave barrier
	s_waitcnt lgkmcnt(0)
	s_and_saveexec_b64 s[20:21], vcc
	s_cbranch_execz .LBB3_16
; %bb.15:
	v_mov_b32_e32 v5, s15
	v_add_co_u32_e64 v23, s[4:5], s14, v2
	v_addc_co_u32_e64 v5, s[4:5], v5, v3, s[4:5]
	v_add_co_u32_e64 v23, s[4:5], v23, v10
	v_addc_co_u32_e64 v5, s[4:5], 0, v5, s[4:5]
	;; [unrolled: 2-line block ×3, first 2 shown]
	v_mov_b32_e32 v27, s7
	v_add_co_u32_e64 v26, s[4:5], s6, v23
	v_addc_co_u32_e64 v27, s[4:5], v5, v27, s[4:5]
	global_load_dwordx2 v[34:35], v[26:27], off
	ds_read2_b64 v[26:29], v15 offset1:16
	ds_read2_b64 v[30:33], v16 offset1:1
	ds_read_b64 v[36:37], v15 offset:256
	ds_read_b64 v[38:39], v16 offset:16
	s_waitcnt lgkmcnt(2)
	v_fma_f64 v[26:27], v[26:27], v[30:31], 0
	v_fmac_f64_e32 v[26:27], v[28:29], v[32:33]
	s_waitcnt lgkmcnt(0)
	v_fmac_f64_e32 v[26:27], v[36:37], v[38:39]
	s_waitcnt vmcnt(0)
	v_mul_f64 v[26:27], v[34:35], v[26:27]
	ds_write_b64 v18, v[26:27]
.LBB3_16:
	s_or_b64 exec, exec, s[20:21]
	s_movk_i32 s24, 0x200
	v_mov_b32_e32 v23, 0x460
	v_mul_u32_u24_e32 v5, 0x60, v25
	v_cmp_gt_u32_e64 s[4:5], 4, v22
	s_xor_b64 s[20:21], s[2:3], -1
	v_add3_u32 v20, v1, v20, s24
	v_lshl_add_u32 v21, v21, 5, v23
	s_movk_i32 s25, 0x60
	v_add3_u32 v5, v5, v24, v10
	s_and_b64 s[20:21], s[20:21], s[4:5]
	s_waitcnt lgkmcnt(0)
	; wave barrier
	s_waitcnt lgkmcnt(0)
	s_and_saveexec_b64 s[4:5], s[20:21]
	s_cbranch_execz .LBB3_18
; %bb.17:
	ds_read_b128 v[26:29], v21
	ds_read_b128 v[30:33], v20
	ds_read_b128 v[34:37], v20 offset:16
	ds_read_b128 v[38:41], v21 offset:16
	s_waitcnt lgkmcnt(2)
	v_fma_f64 v[26:27], v[30:31], v[26:27], 0
	v_fmac_f64_e32 v[26:27], v[32:33], v[28:29]
	s_waitcnt lgkmcnt(0)
	v_fmac_f64_e32 v[26:27], v[34:35], v[38:39]
	v_fmac_f64_e32 v[26:27], v[36:37], v[40:41]
	ds_write_b64 v5, v[26:27]
.LBB3_18:
	s_or_b64 exec, exec, s[4:5]
	v_cmp_lt_u32_e64 s[4:5], 3, v25
	v_mad_u32_u24 v22, v25, s25, v10
	s_movk_i32 s25, 0x48
	s_or_b64 s[0:1], s[4:5], s[0:1]
	v_lshl_add_u32 v23, v4, 5, v23
	v_mad_u32_u24 v4, v25, s25, v24
	s_or_b64 s[0:1], s[2:3], s[0:1]
	v_add3_u32 v4, v4, v10, s24
	s_xor_b64 s[2:3], s[0:1], -1
	s_waitcnt lgkmcnt(0)
	; wave barrier
	s_waitcnt lgkmcnt(0)
	s_and_saveexec_b64 s[0:1], s[2:3]
	s_cbranch_execz .LBB3_20
; %bb.19:
	ds_read2_b64 v[26:29], v22 offset1:3
	ds_read_b128 v[30:33], v23
	ds_read_b128 v[34:37], v23 offset:16
	ds_read2_b64 v[38:41], v22 offset0:6 offset1:9
	s_waitcnt lgkmcnt(2)
	v_fma_f64 v[26:27], v[26:27], v[30:31], 0
	v_fmac_f64_e32 v[26:27], v[28:29], v[32:33]
	s_waitcnt lgkmcnt(0)
	v_fmac_f64_e32 v[26:27], v[38:39], v[34:35]
	v_fmac_f64_e32 v[26:27], v[40:41], v[36:37]
	ds_write_b64 v4, v[26:27]
.LBB3_20:
	s_or_b64 exec, exec, s[0:1]
	s_movk_i32 s0, 0x200
	v_mov_b32_e32 v26, 0x460
	v_add3_u32 v24, v24, v10, s0
	v_lshl_add_u32 v25, v25, 5, v26
	s_waitcnt lgkmcnt(0)
	; wave barrier
	s_waitcnt lgkmcnt(0)
	s_and_saveexec_b64 s[4:5], s[10:11]
	s_cbranch_execz .LBB3_22
; %bb.21:
	ds_read2_b64 v[26:29], v24 offset1:9
	ds_read_b128 v[30:33], v25
	ds_read_b128 v[34:37], v25 offset:16
	ds_read2_b64 v[38:41], v24 offset0:18 offset1:27
	v_mov_b32_e32 v42, s9
	s_waitcnt lgkmcnt(2)
	v_fma_f64 v[26:27], v[26:27], v[30:31], 0
	v_fmac_f64_e32 v[26:27], v[28:29], v[32:33]
	v_add_co_u32_e64 v28, s[0:1], s8, v9
	v_addc_co_u32_e64 v29, s[0:1], v42, v7, s[0:1]
	v_add_co_u32_e64 v28, s[0:1], v28, v10
	v_addc_co_u32_e64 v29, s[0:1], 0, v29, s[0:1]
	;; [unrolled: 2-line block ×3, first 2 shown]
	s_waitcnt lgkmcnt(0)
	v_fmac_f64_e32 v[26:27], v[38:39], v[34:35]
	v_mov_b32_e32 v30, s22
	v_add_co_u32_e64 v28, s[0:1], s23, v28
	v_fmac_f64_e32 v[26:27], v[40:41], v[36:37]
	v_addc_co_u32_e64 v29, s[0:1], v29, v30, s[0:1]
	global_store_dwordx2 v[28:29], v[26:27], off
.LBB3_22:
	s_or_b64 exec, exec, s[4:5]
	s_waitcnt lgkmcnt(0)
	; wave barrier
	s_and_saveexec_b64 s[4:5], s[10:11]
	s_cbranch_execz .LBB3_24
; %bb.23:
	v_mov_b32_e32 v26, s13
	v_add_co_u32_e64 v27, s[0:1], s12, v9
	v_addc_co_u32_e64 v26, s[0:1], v26, v7, s[0:1]
	v_add_co_u32_e64 v27, s[0:1], v27, v10
	v_addc_co_u32_e64 v26, s[0:1], 0, v26, s[0:1]
	;; [unrolled: 2-line block ×3, first 2 shown]
	v_mov_b32_e32 v29, s22
	v_add_co_u32_e64 v26, s[0:1], s23, v27
	v_addc_co_u32_e64 v27, s[0:1], v28, v29, s[0:1]
	global_load_dwordx2 v[26:27], v[26:27], off offset:216
	s_waitcnt vmcnt(0)
	ds_write_b64 v14, v[26:27]
.LBB3_24:
	s_or_b64 exec, exec, s[4:5]
	s_waitcnt lgkmcnt(0)
	; wave barrier
	s_waitcnt lgkmcnt(0)
	s_and_saveexec_b64 s[0:1], s[16:17]
	s_cbranch_execz .LBB3_26
; %bb.25:
	ds_read2_b64 v[26:29], v12 offset1:1
	ds_read2_b64 v[30:33], v11 offset1:1
	ds_read_b64 v[34:35], v11 offset:16
	ds_read_b64 v[36:37], v12 offset:16
	s_waitcnt lgkmcnt(2)
	v_fma_f64 v[26:27], v[30:31], v[26:27], 0
	v_fmac_f64_e32 v[26:27], v[32:33], v[28:29]
	s_waitcnt lgkmcnt(0)
	v_fmac_f64_e32 v[26:27], v[34:35], v[36:37]
	ds_write_b64 v13, v[26:27]
.LBB3_26:
	s_or_b64 exec, exec, s[0:1]
	s_waitcnt lgkmcnt(0)
	; wave barrier
	s_waitcnt lgkmcnt(0)
	s_and_saveexec_b64 s[0:1], s[18:19]
	s_cbranch_execz .LBB3_28
; %bb.27:
	ds_read2_b64 v[26:29], v19 offset1:4
	ds_read2_b64 v[30:33], v0 offset1:1
	ds_read_b64 v[34:35], v19 offset:64
	ds_read_b64 v[36:37], v0 offset:16
	s_waitcnt lgkmcnt(2)
	v_fma_f64 v[26:27], v[26:27], v[30:31], 0
	v_fmac_f64_e32 v[26:27], v[28:29], v[32:33]
	s_waitcnt lgkmcnt(0)
	v_fmac_f64_e32 v[26:27], v[34:35], v[36:37]
	ds_write_b64 v17, v[26:27]
.LBB3_28:
	s_or_b64 exec, exec, s[0:1]
	s_waitcnt lgkmcnt(0)
	; wave barrier
	s_waitcnt lgkmcnt(0)
	s_and_saveexec_b64 s[4:5], vcc
	s_cbranch_execz .LBB3_30
; %bb.29:
	v_mov_b32_e32 v26, s15
	v_add_co_u32_e64 v27, s[0:1], s14, v2
	v_addc_co_u32_e64 v26, s[0:1], v26, v3, s[0:1]
	v_add_co_u32_e64 v27, s[0:1], v27, v10
	v_addc_co_u32_e64 v26, s[0:1], 0, v26, s[0:1]
	;; [unrolled: 2-line block ×3, first 2 shown]
	v_mov_b32_e32 v29, s7
	v_add_co_u32_e64 v26, s[0:1], s6, v27
	v_addc_co_u32_e64 v27, s[0:1], v28, v29, s[0:1]
	global_load_dwordx2 v[34:35], v[26:27], off
	ds_read2_b64 v[26:29], v15 offset1:16
	ds_read2_b64 v[30:33], v16 offset1:1
	ds_read_b64 v[36:37], v15 offset:256
	ds_read_b64 v[38:39], v16 offset:16
	s_waitcnt lgkmcnt(2)
	v_fma_f64 v[26:27], v[26:27], v[30:31], 0
	v_fmac_f64_e32 v[26:27], v[28:29], v[32:33]
	s_waitcnt lgkmcnt(0)
	v_fmac_f64_e32 v[26:27], v[36:37], v[38:39]
	s_waitcnt vmcnt(0)
	v_mul_f64 v[26:27], v[34:35], v[26:27]
	ds_write_b64 v18, v[26:27]
.LBB3_30:
	s_or_b64 exec, exec, s[4:5]
	s_waitcnt lgkmcnt(0)
	; wave barrier
	s_waitcnt lgkmcnt(0)
	s_and_saveexec_b64 s[0:1], s[20:21]
	s_cbranch_execz .LBB3_32
; %bb.31:
	ds_read_b128 v[26:29], v21
	ds_read_b128 v[30:33], v20
	ds_read_b128 v[34:37], v20 offset:16
	ds_read_b128 v[38:41], v21 offset:16
	s_waitcnt lgkmcnt(2)
	v_fma_f64 v[26:27], v[30:31], v[26:27], 0
	v_fmac_f64_e32 v[26:27], v[32:33], v[28:29]
	s_waitcnt lgkmcnt(0)
	v_fmac_f64_e32 v[26:27], v[34:35], v[38:39]
	v_fmac_f64_e32 v[26:27], v[36:37], v[40:41]
	ds_write_b64 v5, v[26:27]
.LBB3_32:
	s_or_b64 exec, exec, s[0:1]
	s_waitcnt lgkmcnt(0)
	; wave barrier
	s_waitcnt lgkmcnt(0)
	s_and_saveexec_b64 s[0:1], s[2:3]
	s_cbranch_execz .LBB3_34
; %bb.33:
	ds_read2_b64 v[26:29], v22 offset1:3
	ds_read_b128 v[30:33], v23
	ds_read_b128 v[34:37], v23 offset:16
	ds_read2_b64 v[38:41], v22 offset0:6 offset1:9
	s_waitcnt lgkmcnt(2)
	v_fma_f64 v[26:27], v[26:27], v[30:31], 0
	v_fmac_f64_e32 v[26:27], v[28:29], v[32:33]
	s_waitcnt lgkmcnt(0)
	v_fmac_f64_e32 v[26:27], v[38:39], v[34:35]
	v_fmac_f64_e32 v[26:27], v[40:41], v[36:37]
	ds_write_b64 v4, v[26:27]
.LBB3_34:
	s_or_b64 exec, exec, s[0:1]
	s_waitcnt lgkmcnt(0)
	; wave barrier
	s_waitcnt lgkmcnt(0)
	s_and_saveexec_b64 s[4:5], s[10:11]
	s_cbranch_execz .LBB3_36
; %bb.35:
	ds_read2_b64 v[26:29], v24 offset1:9
	ds_read_b128 v[30:33], v25
	ds_read_b128 v[34:37], v25 offset:16
	ds_read2_b64 v[38:41], v24 offset0:18 offset1:27
	v_mov_b32_e32 v42, s9
	s_waitcnt lgkmcnt(2)
	v_fma_f64 v[26:27], v[26:27], v[30:31], 0
	v_fmac_f64_e32 v[26:27], v[28:29], v[32:33]
	v_add_co_u32_e64 v28, s[0:1], s8, v9
	v_addc_co_u32_e64 v29, s[0:1], v42, v7, s[0:1]
	v_add_co_u32_e64 v28, s[0:1], v28, v10
	v_addc_co_u32_e64 v29, s[0:1], 0, v29, s[0:1]
	;; [unrolled: 2-line block ×3, first 2 shown]
	s_waitcnt lgkmcnt(0)
	v_fmac_f64_e32 v[26:27], v[38:39], v[34:35]
	v_mov_b32_e32 v30, s22
	v_add_co_u32_e64 v28, s[0:1], s23, v28
	v_fmac_f64_e32 v[26:27], v[40:41], v[36:37]
	v_addc_co_u32_e64 v29, s[0:1], v29, v30, s[0:1]
	global_store_dwordx2 v[28:29], v[26:27], off offset:216
.LBB3_36:
	s_or_b64 exec, exec, s[4:5]
	s_waitcnt lgkmcnt(0)
	; wave barrier
	s_and_saveexec_b64 s[4:5], s[10:11]
	s_cbranch_execz .LBB3_38
; %bb.37:
	v_mov_b32_e32 v26, s13
	v_add_co_u32_e64 v27, s[0:1], s12, v9
	v_addc_co_u32_e64 v26, s[0:1], v26, v7, s[0:1]
	v_add_co_u32_e64 v27, s[0:1], v27, v10
	v_addc_co_u32_e64 v26, s[0:1], 0, v26, s[0:1]
	;; [unrolled: 2-line block ×3, first 2 shown]
	v_mov_b32_e32 v29, s22
	v_add_co_u32_e64 v26, s[0:1], s23, v27
	v_addc_co_u32_e64 v27, s[0:1], v28, v29, s[0:1]
	global_load_dwordx2 v[26:27], v[26:27], off offset:432
	s_waitcnt vmcnt(0)
	ds_write_b64 v14, v[26:27]
.LBB3_38:
	s_or_b64 exec, exec, s[4:5]
	s_waitcnt lgkmcnt(0)
	; wave barrier
	s_waitcnt lgkmcnt(0)
	s_and_saveexec_b64 s[0:1], s[16:17]
	s_cbranch_execz .LBB3_40
; %bb.39:
	ds_read2_b64 v[26:29], v12 offset1:1
	ds_read2_b64 v[30:33], v11 offset1:1
	ds_read_b64 v[34:35], v11 offset:16
	ds_read_b64 v[36:37], v12 offset:16
	s_waitcnt lgkmcnt(2)
	v_fma_f64 v[26:27], v[30:31], v[26:27], 0
	v_fmac_f64_e32 v[26:27], v[32:33], v[28:29]
	s_waitcnt lgkmcnt(0)
	v_fmac_f64_e32 v[26:27], v[34:35], v[36:37]
	ds_write_b64 v13, v[26:27]
.LBB3_40:
	s_or_b64 exec, exec, s[0:1]
	s_waitcnt lgkmcnt(0)
	; wave barrier
	s_waitcnt lgkmcnt(0)
	s_and_saveexec_b64 s[0:1], s[18:19]
	s_cbranch_execz .LBB3_42
; %bb.41:
	ds_read2_b64 v[26:29], v19 offset1:4
	ds_read2_b64 v[30:33], v0 offset1:1
	ds_read_b64 v[12:13], v19 offset:64
	ds_read_b64 v[34:35], v0 offset:16
	s_waitcnt lgkmcnt(2)
	v_fma_f64 v[26:27], v[26:27], v[30:31], 0
	v_fmac_f64_e32 v[26:27], v[28:29], v[32:33]
	s_waitcnt lgkmcnt(0)
	v_fmac_f64_e32 v[26:27], v[12:13], v[34:35]
	ds_write_b64 v17, v[26:27]
.LBB3_42:
	s_or_b64 exec, exec, s[0:1]
	s_waitcnt lgkmcnt(0)
	; wave barrier
	s_waitcnt lgkmcnt(0)
	s_and_saveexec_b64 s[0:1], vcc
	s_cbranch_execz .LBB3_44
; %bb.43:
	v_mov_b32_e32 v0, s15
	v_add_co_u32_e32 v2, vcc, s14, v2
	v_addc_co_u32_e32 v0, vcc, v0, v3, vcc
	v_add_co_u32_e32 v2, vcc, v2, v10
	v_addc_co_u32_e32 v0, vcc, 0, v0, vcc
	;; [unrolled: 2-line block ×3, first 2 shown]
	v_mov_b32_e32 v3, s7
	v_add_co_u32_e32 v0, vcc, s6, v1
	v_addc_co_u32_e32 v1, vcc, v2, v3, vcc
	global_load_dwordx2 v[12:13], v[0:1], off
	ds_read2_b64 v[0:3], v15 offset1:16
	ds_read2_b64 v[26:29], v16 offset1:1
	ds_read_b64 v[14:15], v15 offset:256
	ds_read_b64 v[16:17], v16 offset:16
	s_waitcnt lgkmcnt(2)
	v_fma_f64 v[0:1], v[0:1], v[26:27], 0
	v_fmac_f64_e32 v[0:1], v[2:3], v[28:29]
	s_waitcnt lgkmcnt(0)
	v_fmac_f64_e32 v[0:1], v[14:15], v[16:17]
	s_waitcnt vmcnt(0)
	v_mul_f64 v[0:1], v[12:13], v[0:1]
	ds_write_b64 v18, v[0:1]
.LBB3_44:
	s_or_b64 exec, exec, s[0:1]
	s_waitcnt lgkmcnt(0)
	; wave barrier
	s_waitcnt lgkmcnt(0)
	s_and_saveexec_b64 s[0:1], s[20:21]
	s_cbranch_execz .LBB3_46
; %bb.45:
	ds_read_b128 v[0:3], v21
	ds_read_b128 v[12:15], v20
	ds_read_b128 v[16:19], v20 offset:16
	ds_read_b128 v[26:29], v21 offset:16
	s_waitcnt lgkmcnt(2)
	v_fma_f64 v[0:1], v[12:13], v[0:1], 0
	v_fmac_f64_e32 v[0:1], v[14:15], v[2:3]
	s_waitcnt lgkmcnt(0)
	v_fmac_f64_e32 v[0:1], v[16:17], v[26:27]
	v_fmac_f64_e32 v[0:1], v[18:19], v[28:29]
	ds_write_b64 v5, v[0:1]
.LBB3_46:
	s_or_b64 exec, exec, s[0:1]
	s_waitcnt lgkmcnt(0)
	; wave barrier
	s_waitcnt lgkmcnt(0)
	s_and_saveexec_b64 s[0:1], s[2:3]
	s_cbranch_execz .LBB3_48
; %bb.47:
	ds_read2_b64 v[0:3], v22 offset1:3
	ds_read_b128 v[12:15], v23
	ds_read_b128 v[16:19], v23 offset:16
	ds_read2_b64 v[20:23], v22 offset0:6 offset1:9
	s_waitcnt lgkmcnt(2)
	v_fma_f64 v[0:1], v[0:1], v[12:13], 0
	v_fmac_f64_e32 v[0:1], v[2:3], v[14:15]
	s_waitcnt lgkmcnt(0)
	v_fmac_f64_e32 v[0:1], v[20:21], v[16:17]
	v_fmac_f64_e32 v[0:1], v[22:23], v[18:19]
	ds_write_b64 v4, v[0:1]
.LBB3_48:
	s_or_b64 exec, exec, s[0:1]
	s_waitcnt lgkmcnt(0)
	; wave barrier
	s_waitcnt lgkmcnt(0)
	s_and_saveexec_b64 s[0:1], s[10:11]
	s_cbranch_execz .LBB3_50
; %bb.49:
	ds_read2_b64 v[0:3], v24 offset1:9
	ds_read_b128 v[12:15], v25
	ds_read_b128 v[16:19], v25 offset:16
	ds_read2_b64 v[20:23], v24 offset0:18 offset1:27
	v_mov_b32_e32 v4, s9
	s_waitcnt lgkmcnt(2)
	v_fma_f64 v[0:1], v[0:1], v[12:13], 0
	v_fmac_f64_e32 v[0:1], v[2:3], v[14:15]
	v_add_co_u32_e32 v2, vcc, s8, v9
	v_addc_co_u32_e32 v3, vcc, v4, v7, vcc
	v_add_co_u32_e32 v2, vcc, v2, v10
	v_addc_co_u32_e32 v3, vcc, 0, v3, vcc
	;; [unrolled: 2-line block ×3, first 2 shown]
	s_waitcnt lgkmcnt(0)
	v_fmac_f64_e32 v[0:1], v[20:21], v[16:17]
	v_mov_b32_e32 v4, s22
	v_add_co_u32_e32 v2, vcc, s23, v2
	v_fmac_f64_e32 v[0:1], v[22:23], v[18:19]
	v_addc_co_u32_e32 v3, vcc, v3, v4, vcc
	global_store_dwordx2 v[2:3], v[0:1], off offset:432
.LBB3_50:
	s_or_b64 exec, exec, s[0:1]
	s_waitcnt lgkmcnt(0)
	; wave barrier
.LBB3_51:
	s_endpgm
	.section	.rodata,"a",@progbits
	.p2align	6, 0x0
	.amdhsa_kernel _ZN4RAJA34launch_new_reduce_global_fcn_fixedIZN8rajaperf4apps11MASSVEC3DPA17runHipVariantImplILm64ELm1EEEvNS1_9VariantIDEEUlNS_14LaunchContextTINS_3hip33LaunchContextIndicesAndDimsPolicyINS7_14IndicesAndDimsILb0ELb0ELb0ELb0EEEEEEEE_Li64ENS_4expt15ForallParamPackIJEEEEEvT_T1_
		.amdhsa_group_segment_fixed_size 1216
		.amdhsa_private_segment_fixed_size 0
		.amdhsa_kernarg_size 44
		.amdhsa_user_sgpr_count 6
		.amdhsa_user_sgpr_private_segment_buffer 1
		.amdhsa_user_sgpr_dispatch_ptr 0
		.amdhsa_user_sgpr_queue_ptr 0
		.amdhsa_user_sgpr_kernarg_segment_ptr 1
		.amdhsa_user_sgpr_dispatch_id 0
		.amdhsa_user_sgpr_flat_scratch_init 0
		.amdhsa_user_sgpr_kernarg_preload_length 0
		.amdhsa_user_sgpr_kernarg_preload_offset 0
		.amdhsa_user_sgpr_private_segment_size 0
		.amdhsa_uses_dynamic_stack 0
		.amdhsa_system_sgpr_private_segment_wavefront_offset 0
		.amdhsa_system_sgpr_workgroup_id_x 1
		.amdhsa_system_sgpr_workgroup_id_y 0
		.amdhsa_system_sgpr_workgroup_id_z 0
		.amdhsa_system_sgpr_workgroup_info 0
		.amdhsa_system_vgpr_workitem_id 2
		.amdhsa_next_free_vgpr 43
		.amdhsa_next_free_sgpr 26
		.amdhsa_accum_offset 44
		.amdhsa_reserve_vcc 1
		.amdhsa_reserve_flat_scratch 0
		.amdhsa_float_round_mode_32 0
		.amdhsa_float_round_mode_16_64 0
		.amdhsa_float_denorm_mode_32 3
		.amdhsa_float_denorm_mode_16_64 3
		.amdhsa_dx10_clamp 1
		.amdhsa_ieee_mode 1
		.amdhsa_fp16_overflow 0
		.amdhsa_tg_split 0
		.amdhsa_exception_fp_ieee_invalid_op 0
		.amdhsa_exception_fp_denorm_src 0
		.amdhsa_exception_fp_ieee_div_zero 0
		.amdhsa_exception_fp_ieee_overflow 0
		.amdhsa_exception_fp_ieee_underflow 0
		.amdhsa_exception_fp_ieee_inexact 0
		.amdhsa_exception_int_div_zero 0
	.end_amdhsa_kernel
	.section	.text._ZN4RAJA34launch_new_reduce_global_fcn_fixedIZN8rajaperf4apps11MASSVEC3DPA17runHipVariantImplILm64ELm1EEEvNS1_9VariantIDEEUlNS_14LaunchContextTINS_3hip33LaunchContextIndicesAndDimsPolicyINS7_14IndicesAndDimsILb0ELb0ELb0ELb0EEEEEEEE_Li64ENS_4expt15ForallParamPackIJEEEEEvT_T1_,"axG",@progbits,_ZN4RAJA34launch_new_reduce_global_fcn_fixedIZN8rajaperf4apps11MASSVEC3DPA17runHipVariantImplILm64ELm1EEEvNS1_9VariantIDEEUlNS_14LaunchContextTINS_3hip33LaunchContextIndicesAndDimsPolicyINS7_14IndicesAndDimsILb0ELb0ELb0ELb0EEEEEEEE_Li64ENS_4expt15ForallParamPackIJEEEEEvT_T1_,comdat
.Lfunc_end3:
	.size	_ZN4RAJA34launch_new_reduce_global_fcn_fixedIZN8rajaperf4apps11MASSVEC3DPA17runHipVariantImplILm64ELm1EEEvNS1_9VariantIDEEUlNS_14LaunchContextTINS_3hip33LaunchContextIndicesAndDimsPolicyINS7_14IndicesAndDimsILb0ELb0ELb0ELb0EEEEEEEE_Li64ENS_4expt15ForallParamPackIJEEEEEvT_T1_, .Lfunc_end3-_ZN4RAJA34launch_new_reduce_global_fcn_fixedIZN8rajaperf4apps11MASSVEC3DPA17runHipVariantImplILm64ELm1EEEvNS1_9VariantIDEEUlNS_14LaunchContextTINS_3hip33LaunchContextIndicesAndDimsPolicyINS7_14IndicesAndDimsILb0ELb0ELb0ELb0EEEEEEEE_Li64ENS_4expt15ForallParamPackIJEEEEEvT_T1_
                                        ; -- End function
	.section	.AMDGPU.csdata,"",@progbits
; Kernel info:
; codeLenInByte = 2952
; NumSgprs: 30
; NumVgprs: 43
; NumAgprs: 0
; TotalNumVgprs: 43
; ScratchSize: 0
; MemoryBound: 0
; FloatMode: 240
; IeeeMode: 1
; LDSByteSize: 1216 bytes/workgroup (compile time only)
; SGPRBlocks: 3
; VGPRBlocks: 5
; NumSGPRsForWavesPerEU: 30
; NumVGPRsForWavesPerEU: 43
; AccumOffset: 44
; Occupancy: 8
; WaveLimiterHint : 0
; COMPUTE_PGM_RSRC2:SCRATCH_EN: 0
; COMPUTE_PGM_RSRC2:USER_SGPR: 6
; COMPUTE_PGM_RSRC2:TRAP_HANDLER: 0
; COMPUTE_PGM_RSRC2:TGID_X_EN: 1
; COMPUTE_PGM_RSRC2:TGID_Y_EN: 0
; COMPUTE_PGM_RSRC2:TGID_Z_EN: 0
; COMPUTE_PGM_RSRC2:TIDIG_COMP_CNT: 2
; COMPUTE_PGM_RSRC3_GFX90A:ACCUM_OFFSET: 10
; COMPUTE_PGM_RSRC3_GFX90A:TG_SPLIT: 0
	.section	.text._ZN4RAJA34launch_new_reduce_global_fcn_fixedIZN8rajaperf4apps11MASSVEC3DPA17runHipVariantImplILm64ELm2EEEvNS1_9VariantIDEEUlNS_14LaunchContextTINS_3hip33LaunchContextIndicesAndDimsPolicyINS7_14IndicesAndDimsILb0ELb0ELb1ELb0EEEEEEEE_Li64ENS_4expt15ForallParamPackIJEEEEEvT_T1_,"axG",@progbits,_ZN4RAJA34launch_new_reduce_global_fcn_fixedIZN8rajaperf4apps11MASSVEC3DPA17runHipVariantImplILm64ELm2EEEvNS1_9VariantIDEEUlNS_14LaunchContextTINS_3hip33LaunchContextIndicesAndDimsPolicyINS7_14IndicesAndDimsILb0ELb0ELb1ELb0EEEEEEEE_Li64ENS_4expt15ForallParamPackIJEEEEEvT_T1_,comdat
	.protected	_ZN4RAJA34launch_new_reduce_global_fcn_fixedIZN8rajaperf4apps11MASSVEC3DPA17runHipVariantImplILm64ELm2EEEvNS1_9VariantIDEEUlNS_14LaunchContextTINS_3hip33LaunchContextIndicesAndDimsPolicyINS7_14IndicesAndDimsILb0ELb0ELb1ELb0EEEEEEEE_Li64ENS_4expt15ForallParamPackIJEEEEEvT_T1_ ; -- Begin function _ZN4RAJA34launch_new_reduce_global_fcn_fixedIZN8rajaperf4apps11MASSVEC3DPA17runHipVariantImplILm64ELm2EEEvNS1_9VariantIDEEUlNS_14LaunchContextTINS_3hip33LaunchContextIndicesAndDimsPolicyINS7_14IndicesAndDimsILb0ELb0ELb1ELb0EEEEEEEE_Li64ENS_4expt15ForallParamPackIJEEEEEvT_T1_
	.globl	_ZN4RAJA34launch_new_reduce_global_fcn_fixedIZN8rajaperf4apps11MASSVEC3DPA17runHipVariantImplILm64ELm2EEEvNS1_9VariantIDEEUlNS_14LaunchContextTINS_3hip33LaunchContextIndicesAndDimsPolicyINS7_14IndicesAndDimsILb0ELb0ELb1ELb0EEEEEEEE_Li64ENS_4expt15ForallParamPackIJEEEEEvT_T1_
	.p2align	8
	.type	_ZN4RAJA34launch_new_reduce_global_fcn_fixedIZN8rajaperf4apps11MASSVEC3DPA17runHipVariantImplILm64ELm2EEEvNS1_9VariantIDEEUlNS_14LaunchContextTINS_3hip33LaunchContextIndicesAndDimsPolicyINS7_14IndicesAndDimsILb0ELb0ELb1ELb0EEEEEEEE_Li64ENS_4expt15ForallParamPackIJEEEEEvT_T1_,@function
_ZN4RAJA34launch_new_reduce_global_fcn_fixedIZN8rajaperf4apps11MASSVEC3DPA17runHipVariantImplILm64ELm2EEEvNS1_9VariantIDEEUlNS_14LaunchContextTINS_3hip33LaunchContextIndicesAndDimsPolicyINS7_14IndicesAndDimsILb0ELb0ELb1ELb0EEEEEEEE_Li64ENS_4expt15ForallParamPackIJEEEEEvT_T1_: ; @_ZN4RAJA34launch_new_reduce_global_fcn_fixedIZN8rajaperf4apps11MASSVEC3DPA17runHipVariantImplILm64ELm2EEEvNS1_9VariantIDEEUlNS_14LaunchContextTINS_3hip33LaunchContextIndicesAndDimsPolicyINS7_14IndicesAndDimsILb0ELb0ELb1ELb0EEEEEEEE_Li64ENS_4expt15ForallParamPackIJEEEEEvT_T1_
; %bb.0:
	s_load_dwordx8 s[12:19], s[4:5], 0x0
	s_mov_b32 s7, 0
	v_pk_mov_b32 v[2:3], s[6:7], s[6:7] op_sel:[0,1]
	s_waitcnt lgkmcnt(0)
	v_cmp_le_i64_e32 vcc, s[12:13], v[2:3]
	s_cbranch_vccnz .LBB4_78
; %bb.1:
	s_load_dwordx2 s[0:1], s[4:5], 0x3c
	s_load_dwordx2 s[20:21], s[4:5], 0x20
	v_bfe_u32 v8, v0, 20, 10
	v_cmp_ne_u32_e32 vcc, 0, v8
	v_bfe_u32 v10, v0, 10, 10
	s_waitcnt lgkmcnt(0)
	s_and_b32 s33, s1, 0xffff
	s_lshr_b32 s8, s0, 16
	s_and_b32 s10, s0, 0xffff
                                        ; implicit-def: $vgpr12
                                        ; implicit-def: $vgpr2_vgpr3
                                        ; implicit-def: $sgpr2_sgpr3
                                        ; implicit-def: $vgpr4_vgpr5
                                        ; implicit-def: $sgpr0_sgpr1
	s_and_saveexec_b64 s[4:5], vcc
	s_xor_b64 s[4:5], exec, s[4:5]
	s_cbranch_execz .LBB4_3
; %bb.2:
	v_bfe_u32 v10, v0, 10, 10
	s_mov_b32 s9, 0
	v_mov_b32_e32 v11, 0
	v_and_b32_e32 v12, 0x3ff, v0
	v_mov_b32_e32 v13, v11
	s_mov_b32 s11, s9
	v_lshlrev_b32_e32 v2, 3, v12
	v_mov_b32_e32 v3, v11
	s_lshl_b32 s2, s10, 3
	s_mov_b32 s3, s9
	v_lshlrev_b32_e32 v4, 5, v10
	v_mov_b32_e32 v5, v11
	s_lshl_b32 s0, s8, 5
	s_mov_b32 s1, s9
                                        ; implicit-def: $vgpr0
.LBB4_3:
	s_or_saveexec_b64 s[12:13], s[4:5]
	v_pk_mov_b32 v[14:15], s[8:9], s[8:9] op_sel:[0,1]
	v_pk_mov_b32 v[16:17], s[10:11], s[10:11] op_sel:[0,1]
	;; [unrolled: 1-line block ×3, first 2 shown]
	v_mov_b32_e32 v1, s33
	v_pk_mov_b32 v[20:21], s[0:1], s[0:1] op_sel:[0,1]
	s_xor_b64 exec, exec, s[12:13]
	s_cbranch_execz .LBB4_13
; %bb.4:
	v_and_b32_e32 v12, 0x3ff, v0
	v_lshlrev_b32_e32 v4, 5, v10
	v_lshlrev_b32_e32 v2, 3, v12
	v_add_co_u32_e32 v0, vcc, v4, v2
	v_addc_co_u32_e64 v1, s[4:5], 0, 0, vcc
	v_mov_b32_e32 v6, s15
	v_add_co_u32_e32 v0, vcc, s14, v0
	s_movk_i32 s4, 0x460
	s_mov_b32 s9, 0
	v_mov_b32_e32 v11, 0
	s_cmp_lg_u32 s33, 0
	v_addc_co_u32_e32 v1, vcc, v6, v1, vcc
	v_add3_u32 v9, v4, v2, s4
	v_mul_u32_u24_e32 v6, 24, v12
	v_lshlrev_b32_e32 v7, 3, v10
	s_movk_i32 s4, 0x400
	v_cmp_gt_u32_e64 s[0:1], 3, v10
	v_cmp_gt_u32_e64 s[2:3], 4, v12
	v_mov_b32_e32 v13, v11
	s_cselect_b64 s[22:23], -1, 0
	s_mov_b32 s11, s9
	v_mov_b32_e32 v5, v11
	v_mov_b32_e32 v3, v11
	s_lshl_b32 s14, s8, 5
	s_mov_b32 s15, s9
	s_lshl_b32 s24, s10, 3
	s_mov_b32 s25, s9
	v_add3_u32 v20, v6, v7, s4
	s_lshl_b32 s36, s8, 3
	s_mul_i32 s37, s10, 24
	s_branch .LBB4_6
.LBB4_5:                                ;   in Loop: Header=BB4_6 Depth=1
	s_or_b64 exec, exec, s[26:27]
	s_andn2_b64 vcc, exec, s[22:23]
	s_cbranch_vccz .LBB4_12
.LBB4_6:                                ; =>This Loop Header: Depth=1
                                        ;     Child Loop BB4_9 Depth 2
                                        ;       Child Loop BB4_11 Depth 3
	s_and_saveexec_b64 s[26:27], s[0:1]
	s_cbranch_execz .LBB4_5
; %bb.7:                                ;   in Loop: Header=BB4_6 Depth=1
	s_mov_b64 s[28:29], 0
	v_mov_b32_e32 v21, v20
	v_mov_b32_e32 v22, v9
	v_pk_mov_b32 v[6:7], v[0:1], v[0:1] op_sel:[0,1]
	v_pk_mov_b32 v[14:15], v[10:11], v[10:11] op_sel:[0,1]
	s_branch .LBB4_9
.LBB4_8:                                ;   in Loop: Header=BB4_9 Depth=2
	s_or_b64 exec, exec, s[30:31]
	v_mov_b32_e32 v16, s9
	v_add_co_u32_e32 v14, vcc, s8, v14
	v_addc_co_u32_e32 v15, vcc, v15, v16, vcc
	v_mov_b32_e32 v16, s15
	v_add_co_u32_e32 v6, vcc, s14, v6
	v_addc_co_u32_e32 v7, vcc, v7, v16, vcc
	v_cmp_lt_u64_e32 vcc, 2, v[14:15]
	v_add_u32_e32 v22, s14, v22
	s_or_b64 s[28:29], vcc, s[28:29]
	v_add_u32_e32 v21, s36, v21
	s_andn2_b64 exec, exec, s[28:29]
	s_cbranch_execz .LBB4_5
.LBB4_9:                                ;   Parent Loop BB4_6 Depth=1
                                        ; =>  This Loop Header: Depth=2
                                        ;       Child Loop BB4_11 Depth 3
	s_and_saveexec_b64 s[30:31], s[2:3]
	s_cbranch_execz .LBB4_8
; %bb.10:                               ;   in Loop: Header=BB4_9 Depth=2
	s_mov_b64 s[34:35], 0
	v_mov_b32_e32 v23, v21
	v_mov_b32_e32 v24, v22
	v_pk_mov_b32 v[16:17], v[6:7], v[6:7] op_sel:[0,1]
	v_pk_mov_b32 v[18:19], v[12:13], v[12:13] op_sel:[0,1]
.LBB4_11:                               ;   Parent Loop BB4_6 Depth=1
                                        ;     Parent Loop BB4_9 Depth=2
                                        ; =>    This Inner Loop Header: Depth=3
	global_load_dwordx2 v[26:27], v[16:17], off
	v_mov_b32_e32 v25, s11
	v_mov_b32_e32 v28, s25
	v_add_co_u32_e32 v16, vcc, s24, v16
	v_add_co_u32_e64 v18, s[4:5], s10, v18
	v_addc_co_u32_e64 v19, s[4:5], v19, v25, s[4:5]
	v_addc_co_u32_e32 v17, vcc, v17, v28, vcc
	v_cmp_lt_u64_e32 vcc, 3, v[18:19]
	s_or_b64 s[34:35], vcc, s[34:35]
	s_waitcnt vmcnt(0)
	ds_write_b64 v23, v[26:27]
	ds_write_b64 v24, v[26:27]
	v_add_u32_e32 v24, s24, v24
	v_add_u32_e32 v23, s37, v23
	s_andn2_b64 exec, exec, s[34:35]
	s_cbranch_execnz .LBB4_11
	s_branch .LBB4_8
.LBB4_12:
	v_pk_mov_b32 v[14:15], s[8:9], s[8:9] op_sel:[0,1]
	v_pk_mov_b32 v[16:17], s[10:11], s[10:11] op_sel:[0,1]
	;; [unrolled: 1-line block ×3, first 2 shown]
	v_mov_b32_e32 v1, s33
	v_pk_mov_b32 v[20:21], s[14:15], s[14:15] op_sel:[0,1]
.LBB4_13:
	s_or_b64 exec, exec, s[12:13]
	v_mul_hi_u32_u24_e32 v7, 0x48, v8
	v_mul_u32_u24_e32 v6, 0x48, v8
	v_mov_b32_e32 v0, 0x288
	s_lshl_b64 s[14:15], s[6:7], 9
	v_mad_u64_u32 v[6:7], s[6:7], s6, v0, v[6:7]
	v_mad_u64_u32 v[6:7], s[6:7], v10, 24, v[6:7]
	v_mov_b32_e32 v0, v7
	v_mad_u64_u32 v[22:23], s[6:7], v11, 24, v[0:1]
	v_mov_b32_e32 v7, v22
	v_add_co_u32_e32 v30, vcc, v6, v2
	v_addc_co_u32_e32 v31, vcc, v7, v3, vcc
	v_mov_b32_e32 v0, s17
	v_add_co_u32_e32 v22, vcc, s16, v30
	v_mad_u64_u32 v[24:25], s[6:7], v14, 24, 0
	v_addc_co_u32_e32 v23, vcc, v0, v31, vcc
	v_mov_b32_e32 v0, v25
	v_mad_u64_u32 v[6:7], s[6:7], v15, 24, v[0:1]
	v_mov_b32_e32 v25, v6
	v_lshlrev_b32_e32 v28, 3, v12
	s_movk_i32 s6, 0x60
	v_mov_b32_e32 v6, 0x400
	v_lshlrev_b32_e32 v29, 5, v10
	v_mad_u32_u24 v47, v8, s6, v28
	s_movk_i32 s7, 0x200
	v_mov_b32_e32 v7, 0
	s_movk_i32 s27, 0x48
	v_add3_u32 v48, v47, v29, s7
	v_mul_lo_u32 v49, v1, s6
	v_mad_u64_u32 v[26:27], s[6:7], v12, 24, v[6:7]
	v_lshlrev_b32_e32 v6, 7, v8
	v_add_u32_e32 v51, v29, v28
	v_mul_lo_u32 v45, v1, s27
	v_add_u32_e32 v52, v51, v6
	v_lshlrev_b32_e32 v53, 7, v1
	v_mov_b32_e32 v1, s15
	v_add_co_u32_e32 v6, vcc, s14, v6
	v_addc_co_u32_e32 v1, vcc, 0, v1, vcc
	v_add_co_u32_e32 v4, vcc, v6, v4
	v_addc_co_u32_e32 v1, vcc, v1, v5, vcc
	v_add_co_u32_e32 v2, vcc, v4, v2
	v_mul_lo_u32 v0, v10, 24
	v_addc_co_u32_e32 v1, vcc, v1, v3, vcc
	v_add_u32_e32 v32, v0, v28
	v_mov_b32_e32 v3, s19
	v_add_co_u32_e32 v28, vcc, s18, v2
	v_addc_co_u32_e32 v29, vcc, v3, v1, vcc
	s_mov_b32 s26, 0
	v_mad_u32_u24 v44, v8, s27, v32
	v_add_u32_e32 v56, v47, v0
	v_mov_b32_e32 v57, 0x460
	v_mov_b32_e32 v0, s21
	v_add_co_u32_e32 v30, vcc, s20, v30
	v_mov_b32_e32 v9, 0
	v_cmp_gt_u32_e64 s[0:1], 3, v8
	v_cmp_gt_u32_e64 s[2:3], 4, v8
	;; [unrolled: 1-line block ×6, first 2 shown]
	s_mul_i32 s28, s33, 0x48
	s_mov_b32 s29, s26
	v_lshlrev_b32_e32 v46, 3, v16
	v_lshlrev_b32_e32 v50, 5, v14
	v_mul_lo_u32 v27, v16, 24
	v_add_u32_e32 v54, 0x200, v47
	s_lshl_b32 s30, s33, 7
	s_mov_b32 s31, s26
	v_add_u32_e32 v55, 0x200, v52
	v_lshl_add_u32 v58, v12, 5, v57
	v_lshlrev_b32_e32 v59, 5, v16
	v_add_u32_e32 v60, 0x200, v44
	v_addc_co_u32_e32 v31, vcc, v0, v31, vcc
	v_add_u32_e32 v61, 0x200, v32
	s_mov_b64 s[6:7], 0
	s_branch .LBB4_15
.LBB4_14:                               ;   in Loop: Header=BB4_15 Depth=1
	s_or_b64 exec, exec, s[14:15]
	v_add_co_u32_e32 v22, vcc, 0xd8, v22
	s_add_u32 s6, s6, 1
	v_addc_co_u32_e32 v23, vcc, 0, v23, vcc
	s_addc_u32 s7, s7, 0
	v_add_co_u32_e32 v30, vcc, 0xd8, v30
	s_cmp_lg_u64 s[6:7], 3
	v_addc_co_u32_e32 v31, vcc, 0, v31, vcc
	s_waitcnt lgkmcnt(0)
	; wave barrier
	s_cbranch_scc0 .LBB4_78
.LBB4_15:                               ; =>This Loop Header: Depth=1
                                        ;     Child Loop BB4_18 Depth 2
                                        ;       Child Loop BB4_21 Depth 3
                                        ;         Child Loop BB4_23 Depth 4
                                        ;     Child Loop BB4_27 Depth 2
                                        ;       Child Loop BB4_30 Depth 3
                                        ;         Child Loop BB4_32 Depth 4
                                        ;     Child Loop BB4_36 Depth 2
                                        ;       Child Loop BB4_39 Depth 3
                                        ;         Child Loop BB4_41 Depth 4
                                        ;     Child Loop BB4_45 Depth 2
                                        ;       Child Loop BB4_48 Depth 3
                                        ;         Child Loop BB4_50 Depth 4
                                        ;     Child Loop BB4_54 Depth 2
                                        ;       Child Loop BB4_57 Depth 3
                                        ;         Child Loop BB4_59 Depth 4
                                        ;     Child Loop BB4_63 Depth 2
                                        ;       Child Loop BB4_66 Depth 3
                                        ;         Child Loop BB4_68 Depth 4
                                        ;     Child Loop BB4_72 Depth 2
                                        ;       Child Loop BB4_75 Depth 3
                                        ;         Child Loop BB4_77 Depth 4
	s_and_saveexec_b64 s[14:15], s[0:1]
	s_cbranch_execz .LBB4_24
; %bb.16:                               ;   in Loop: Header=BB4_15 Depth=1
	s_mov_b64 s[16:17], 0
	v_mov_b32_e32 v36, v44
	v_pk_mov_b32 v[0:1], v[22:23], v[22:23] op_sel:[0,1]
	v_pk_mov_b32 v[2:3], v[8:9], v[8:9] op_sel:[0,1]
	s_branch .LBB4_18
.LBB4_17:                               ;   in Loop: Header=BB4_18 Depth=2
	s_or_b64 exec, exec, s[18:19]
	v_mov_b32_e32 v4, s26
	v_add_co_u32_e32 v2, vcc, s33, v2
	v_addc_co_u32_e32 v3, vcc, v3, v4, vcc
	v_mov_b32_e32 v4, s29
	v_add_co_u32_e32 v0, vcc, s28, v0
	v_addc_co_u32_e32 v1, vcc, v1, v4, vcc
	v_cmp_lt_u64_e32 vcc, 2, v[2:3]
	s_or_b64 s[16:17], vcc, s[16:17]
	v_add_u32_e32 v36, v36, v45
	s_andn2_b64 exec, exec, s[16:17]
	s_cbranch_execz .LBB4_24
.LBB4_18:                               ;   Parent Loop BB4_15 Depth=1
                                        ; =>  This Loop Header: Depth=2
                                        ;       Child Loop BB4_21 Depth 3
                                        ;         Child Loop BB4_23 Depth 4
	s_and_saveexec_b64 s[18:19], s[4:5]
	s_cbranch_execz .LBB4_17
; %bb.19:                               ;   in Loop: Header=BB4_18 Depth=2
	s_mov_b64 s[20:21], 0
	v_mov_b32_e32 v37, v36
	v_pk_mov_b32 v[4:5], v[0:1], v[0:1] op_sel:[0,1]
	v_pk_mov_b32 v[6:7], v[10:11], v[10:11] op_sel:[0,1]
	s_branch .LBB4_21
.LBB4_20:                               ;   in Loop: Header=BB4_21 Depth=3
	s_or_b64 exec, exec, s[22:23]
	v_add_co_u32_e32 v6, vcc, v6, v14
	v_addc_co_u32_e32 v7, vcc, v7, v15, vcc
	v_add_co_u32_e32 v4, vcc, v4, v24
	v_addc_co_u32_e32 v5, vcc, v5, v25, vcc
	v_cmp_lt_u64_e32 vcc, 2, v[6:7]
	s_or_b64 s[20:21], vcc, s[20:21]
	v_add_u32_e32 v37, v37, v24
	s_andn2_b64 exec, exec, s[20:21]
	s_cbranch_execz .LBB4_17
.LBB4_21:                               ;   Parent Loop BB4_15 Depth=1
                                        ;     Parent Loop BB4_18 Depth=2
                                        ; =>    This Loop Header: Depth=3
                                        ;         Child Loop BB4_23 Depth 4
	s_and_saveexec_b64 s[22:23], s[12:13]
	s_cbranch_execz .LBB4_20
; %bb.22:                               ;   in Loop: Header=BB4_21 Depth=3
	s_mov_b64 s[24:25], 0
	v_mov_b32_e32 v38, v37
	v_pk_mov_b32 v[32:33], v[4:5], v[4:5] op_sel:[0,1]
	v_pk_mov_b32 v[34:35], v[12:13], v[12:13] op_sel:[0,1]
.LBB4_23:                               ;   Parent Loop BB4_15 Depth=1
                                        ;     Parent Loop BB4_18 Depth=2
                                        ;       Parent Loop BB4_21 Depth=3
                                        ; =>      This Inner Loop Header: Depth=4
	global_load_dwordx2 v[40:41], v[32:33], off
	v_add_co_u32_e32 v34, vcc, v34, v16
	v_addc_co_u32_e32 v35, vcc, v35, v17, vcc
	v_add_co_u32_e32 v32, vcc, v32, v18
	v_addc_co_u32_e32 v33, vcc, v33, v19, vcc
	v_cmp_lt_u64_e32 vcc, 2, v[34:35]
	s_or_b64 s[24:25], vcc, s[24:25]
	s_waitcnt vmcnt(0)
	ds_write_b64 v38, v[40:41]
	v_add_u32_e32 v38, v38, v46
	s_andn2_b64 exec, exec, s[24:25]
	s_cbranch_execnz .LBB4_23
	s_branch .LBB4_20
.LBB4_24:                               ;   in Loop: Header=BB4_15 Depth=1
	s_or_b64 exec, exec, s[14:15]
	s_waitcnt lgkmcnt(0)
	; wave barrier
	s_waitcnt lgkmcnt(0)
	s_and_saveexec_b64 s[14:15], s[0:1]
	s_cbranch_execz .LBB4_33
; %bb.25:                               ;   in Loop: Header=BB4_15 Depth=1
	s_mov_b64 s[16:17], 0
	v_mov_b32_e32 v36, v48
	v_pk_mov_b32 v[4:5], v[8:9], v[8:9] op_sel:[0,1]
	s_branch .LBB4_27
.LBB4_26:                               ;   in Loop: Header=BB4_27 Depth=2
	s_or_b64 exec, exec, s[18:19]
	v_mov_b32_e32 v0, s26
	v_add_co_u32_e32 v4, vcc, s33, v4
	v_addc_co_u32_e32 v5, vcc, v5, v0, vcc
	v_cmp_lt_u64_e32 vcc, 2, v[4:5]
	s_or_b64 s[16:17], vcc, s[16:17]
	v_add_u32_e32 v36, v36, v49
	s_andn2_b64 exec, exec, s[16:17]
	s_cbranch_execz .LBB4_33
.LBB4_27:                               ;   Parent Loop BB4_15 Depth=1
                                        ; =>  This Loop Header: Depth=2
                                        ;       Child Loop BB4_30 Depth 3
                                        ;         Child Loop BB4_32 Depth 4
	s_and_saveexec_b64 s[18:19], s[4:5]
	s_cbranch_execz .LBB4_26
; %bb.28:                               ;   in Loop: Header=BB4_27 Depth=2
	s_mov_b64 s[20:21], 0
	v_mov_b32_e32 v37, v36
	v_pk_mov_b32 v[6:7], v[10:11], v[10:11] op_sel:[0,1]
	s_branch .LBB4_30
.LBB4_29:                               ;   in Loop: Header=BB4_30 Depth=3
	s_or_b64 exec, exec, s[22:23]
	v_add_co_u32_e32 v6, vcc, v6, v14
	v_addc_co_u32_e32 v7, vcc, v7, v15, vcc
	v_cmp_lt_u64_e32 vcc, 2, v[6:7]
	s_or_b64 s[20:21], vcc, s[20:21]
	v_add_u32_e32 v37, v37, v50
	s_andn2_b64 exec, exec, s[20:21]
	s_cbranch_execz .LBB4_26
.LBB4_30:                               ;   Parent Loop BB4_15 Depth=1
                                        ;     Parent Loop BB4_27 Depth=2
                                        ; =>    This Loop Header: Depth=3
                                        ;         Child Loop BB4_32 Depth 4
	s_and_saveexec_b64 s[22:23], s[8:9]
	s_cbranch_execz .LBB4_29
; %bb.31:                               ;   in Loop: Header=BB4_30 Depth=3
	v_mul_lo_u32 v0, v6, 24
	v_mad_u64_u32 v[32:33], s[24:25], v4, s27, v[0:1]
	ds_read2_b64 v[0:3], v32 offset1:1
	ds_read_b64 v[32:33], v32 offset:16
	s_mov_b64 s[24:25], 0
	v_mov_b32_e32 v38, v26
	v_mov_b32_e32 v39, v37
	v_pk_mov_b32 v[34:35], v[12:13], v[12:13] op_sel:[0,1]
.LBB4_32:                               ;   Parent Loop BB4_15 Depth=1
                                        ;     Parent Loop BB4_27 Depth=2
                                        ;       Parent Loop BB4_30 Depth=3
                                        ; =>      This Inner Loop Header: Depth=4
	ds_read2_b64 v[40:43], v38 offset1:1
	v_add_co_u32_e32 v34, vcc, v34, v16
	v_addc_co_u32_e32 v35, vcc, v35, v17, vcc
	s_waitcnt lgkmcnt(0)
	v_fma_f64 v[40:41], v[0:1], v[40:41], 0
	v_fmac_f64_e32 v[40:41], v[2:3], v[42:43]
	ds_read_b64 v[42:43], v38 offset:16
	v_cmp_lt_u64_e32 vcc, 3, v[34:35]
	v_add_u32_e32 v38, v38, v27
	s_or_b64 s[24:25], vcc, s[24:25]
	s_waitcnt lgkmcnt(0)
	v_fmac_f64_e32 v[40:41], v[32:33], v[42:43]
	ds_write_b64 v39, v[40:41]
	v_add_u32_e32 v39, v39, v46
	s_andn2_b64 exec, exec, s[24:25]
	s_cbranch_execnz .LBB4_32
	s_branch .LBB4_29
.LBB4_33:                               ;   in Loop: Header=BB4_15 Depth=1
	s_or_b64 exec, exec, s[14:15]
	s_waitcnt lgkmcnt(0)
	; wave barrier
	s_waitcnt lgkmcnt(0)
	s_and_saveexec_b64 s[14:15], s[0:1]
	s_cbranch_execz .LBB4_42
; %bb.34:                               ;   in Loop: Header=BB4_15 Depth=1
	s_mov_b64 s[16:17], 0
	v_mov_b32_e32 v36, v54
	v_mov_b32_e32 v37, v52
	v_pk_mov_b32 v[4:5], v[8:9], v[8:9] op_sel:[0,1]
	s_branch .LBB4_36
.LBB4_35:                               ;   in Loop: Header=BB4_36 Depth=2
	s_or_b64 exec, exec, s[18:19]
	v_mov_b32_e32 v0, s26
	v_add_co_u32_e32 v4, vcc, s33, v4
	v_addc_co_u32_e32 v5, vcc, v5, v0, vcc
	v_cmp_lt_u64_e32 vcc, 2, v[4:5]
	v_add_u32_e32 v37, v37, v53
	s_or_b64 s[16:17], vcc, s[16:17]
	v_add_u32_e32 v36, v36, v49
	s_andn2_b64 exec, exec, s[16:17]
	s_cbranch_execz .LBB4_42
.LBB4_36:                               ;   Parent Loop BB4_15 Depth=1
                                        ; =>  This Loop Header: Depth=2
                                        ;       Child Loop BB4_39 Depth 3
                                        ;         Child Loop BB4_41 Depth 4
	s_and_saveexec_b64 s[18:19], s[10:11]
	s_cbranch_execz .LBB4_35
; %bb.37:                               ;   in Loop: Header=BB4_36 Depth=2
	s_mov_b64 s[20:21], 0
	v_mov_b32_e32 v38, v37
	v_pk_mov_b32 v[6:7], v[10:11], v[10:11] op_sel:[0,1]
	s_branch .LBB4_39
.LBB4_38:                               ;   in Loop: Header=BB4_39 Depth=3
	s_or_b64 exec, exec, s[22:23]
	v_add_co_u32_e32 v6, vcc, v6, v14
	v_addc_co_u32_e32 v7, vcc, v7, v15, vcc
	v_cmp_lt_u64_e32 vcc, 3, v[6:7]
	s_or_b64 s[20:21], vcc, s[20:21]
	v_add_u32_e32 v38, v38, v50
	s_andn2_b64 exec, exec, s[20:21]
	s_cbranch_execz .LBB4_35
.LBB4_39:                               ;   Parent Loop BB4_15 Depth=1
                                        ;     Parent Loop BB4_36 Depth=2
                                        ; =>    This Loop Header: Depth=3
                                        ;         Child Loop BB4_41 Depth 4
	s_and_saveexec_b64 s[22:23], s[8:9]
	s_cbranch_execz .LBB4_38
; %bb.40:                               ;   in Loop: Header=BB4_39 Depth=3
	v_mul_lo_u32 v32, v6, 24
	ds_read2_b64 v[0:3], v32 offset0:128 offset1:129
	ds_read_b64 v[32:33], v32 offset:1040
	s_mov_b64 s[24:25], 0
	v_mov_b32_e32 v39, 0
	v_pk_mov_b32 v[34:35], v[12:13], v[12:13] op_sel:[0,1]
.LBB4_41:                               ;   Parent Loop BB4_15 Depth=1
                                        ;     Parent Loop BB4_36 Depth=2
                                        ;       Parent Loop BB4_39 Depth=3
                                        ; =>      This Inner Loop Header: Depth=4
	v_add_u32_e32 v62, v36, v39
	ds_read2_b64 v[40:43], v62 offset1:4
	ds_read_b64 v[62:63], v62 offset:64
	v_add_co_u32_e32 v34, vcc, v34, v16
	v_addc_co_u32_e32 v35, vcc, v35, v17, vcc
	s_waitcnt lgkmcnt(1)
	v_fma_f64 v[40:41], v[0:1], v[40:41], 0
	v_cmp_lt_u64_e32 vcc, 3, v[34:35]
	v_fmac_f64_e32 v[40:41], v[2:3], v[42:43]
	v_add_u32_e32 v64, v38, v39
	v_add_u32_e32 v39, v39, v46
	s_or_b64 s[24:25], vcc, s[24:25]
	s_waitcnt lgkmcnt(0)
	v_fmac_f64_e32 v[40:41], v[32:33], v[62:63]
	ds_write_b64 v64, v[40:41]
	s_andn2_b64 exec, exec, s[24:25]
	s_cbranch_execnz .LBB4_41
	s_branch .LBB4_38
.LBB4_42:                               ;   in Loop: Header=BB4_15 Depth=1
	s_or_b64 exec, exec, s[14:15]
	s_waitcnt lgkmcnt(0)
	; wave barrier
	s_waitcnt lgkmcnt(0)
	s_and_saveexec_b64 s[14:15], s[2:3]
	s_cbranch_execz .LBB4_51
; %bb.43:                               ;   in Loop: Header=BB4_15 Depth=1
	s_mov_b64 s[16:17], 0
	v_mov_b32_e32 v62, v55
	v_pk_mov_b32 v[4:5], v[28:29], v[28:29] op_sel:[0,1]
	v_pk_mov_b32 v[6:7], v[8:9], v[8:9] op_sel:[0,1]
	s_branch .LBB4_45
.LBB4_44:                               ;   in Loop: Header=BB4_45 Depth=2
	s_or_b64 exec, exec, s[18:19]
	v_mov_b32_e32 v0, s26
	v_add_co_u32_e32 v6, vcc, s33, v6
	v_addc_co_u32_e32 v7, vcc, v7, v0, vcc
	v_mov_b32_e32 v0, s31
	v_add_co_u32_e32 v4, vcc, s30, v4
	v_addc_co_u32_e32 v5, vcc, v5, v0, vcc
	v_cmp_lt_u64_e32 vcc, 3, v[6:7]
	s_or_b64 s[16:17], vcc, s[16:17]
	v_add_u32_e32 v62, v62, v53
	s_andn2_b64 exec, exec, s[16:17]
	s_cbranch_execz .LBB4_51
.LBB4_45:                               ;   Parent Loop BB4_15 Depth=1
                                        ; =>  This Loop Header: Depth=2
                                        ;       Child Loop BB4_48 Depth 3
                                        ;         Child Loop BB4_50 Depth 4
	s_and_saveexec_b64 s[18:19], s[10:11]
	s_cbranch_execz .LBB4_44
; %bb.46:                               ;   in Loop: Header=BB4_45 Depth=2
	v_mov_b32_e32 v0, 0x400
	v_mov_b32_e32 v1, 0
	v_mad_u64_u32 v[32:33], s[20:21], v6, 24, v[0:1]
	s_mov_b64 s[20:21], 0
	v_mov_b32_e32 v33, v51
	v_mov_b32_e32 v63, v62
	v_pk_mov_b32 v[34:35], v[4:5], v[4:5] op_sel:[0,1]
	v_pk_mov_b32 v[36:37], v[10:11], v[10:11] op_sel:[0,1]
	s_branch .LBB4_48
.LBB4_47:                               ;   in Loop: Header=BB4_48 Depth=3
	s_or_b64 exec, exec, s[22:23]
	v_add_co_u32_e32 v36, vcc, v36, v14
	v_addc_co_u32_e32 v37, vcc, v37, v15, vcc
	v_add_co_u32_e32 v34, vcc, v34, v20
	v_addc_co_u32_e32 v35, vcc, v35, v21, vcc
	v_cmp_lt_u64_e32 vcc, 3, v[36:37]
	v_add_u32_e32 v63, v63, v50
	s_or_b64 s[20:21], vcc, s[20:21]
	v_add_u32_e32 v33, v33, v50
	s_andn2_b64 exec, exec, s[20:21]
	s_cbranch_execz .LBB4_44
.LBB4_48:                               ;   Parent Loop BB4_15 Depth=1
                                        ;     Parent Loop BB4_45 Depth=2
                                        ; =>    This Loop Header: Depth=3
                                        ;         Child Loop BB4_50 Depth 4
	s_and_saveexec_b64 s[22:23], s[8:9]
	s_cbranch_execz .LBB4_47
; %bb.49:                               ;   in Loop: Header=BB4_48 Depth=3
	ds_read2_b64 v[0:3], v32 offset1:1
	ds_read_b64 v[38:39], v32 offset:16
	s_mov_b64 s[24:25], 0
	v_mov_b32_e32 v64, 0
	v_pk_mov_b32 v[40:41], v[34:35], v[34:35] op_sel:[0,1]
	v_pk_mov_b32 v[42:43], v[12:13], v[12:13] op_sel:[0,1]
.LBB4_50:                               ;   Parent Loop BB4_15 Depth=1
                                        ;     Parent Loop BB4_45 Depth=2
                                        ;       Parent Loop BB4_48 Depth=3
                                        ; =>      This Inner Loop Header: Depth=4
	v_add_u32_e32 v65, v33, v64
	ds_read2_b64 v[66:69], v65 offset1:16
	v_add_co_u32_e32 v42, vcc, v42, v16
	v_addc_co_u32_e32 v43, vcc, v43, v17, vcc
	s_waitcnt lgkmcnt(0)
	v_fma_f64 v[66:67], v[0:1], v[66:67], 0
	v_fmac_f64_e32 v[66:67], v[2:3], v[68:69]
	ds_read_b64 v[68:69], v65 offset:256
	v_add_u32_e32 v65, v63, v64
	v_add_u32_e32 v64, v64, v46
	s_waitcnt lgkmcnt(0)
	v_fmac_f64_e32 v[66:67], v[38:39], v[68:69]
	global_load_dwordx2 v[68:69], v[40:41], off
	v_add_co_u32_e32 v40, vcc, v40, v18
	v_addc_co_u32_e32 v41, vcc, v41, v19, vcc
	v_cmp_lt_u64_e32 vcc, 3, v[42:43]
	s_or_b64 s[24:25], vcc, s[24:25]
	s_waitcnt vmcnt(0)
	v_mul_f64 v[66:67], v[68:69], v[66:67]
	ds_write_b64 v65, v[66:67]
	s_andn2_b64 exec, exec, s[24:25]
	s_cbranch_execnz .LBB4_50
	s_branch .LBB4_47
.LBB4_51:                               ;   in Loop: Header=BB4_15 Depth=1
	s_or_b64 exec, exec, s[14:15]
	s_waitcnt lgkmcnt(0)
	; wave barrier
	s_waitcnt lgkmcnt(0)
	s_and_saveexec_b64 s[14:15], s[2:3]
	s_cbranch_execz .LBB4_60
; %bb.52:                               ;   in Loop: Header=BB4_15 Depth=1
	s_mov_b64 s[16:17], 0
	v_mov_b32_e32 v38, v56
	v_pk_mov_b32 v[32:33], v[8:9], v[8:9] op_sel:[0,1]
	s_branch .LBB4_54
.LBB4_53:                               ;   in Loop: Header=BB4_54 Depth=2
	s_or_b64 exec, exec, s[18:19]
	v_mov_b32_e32 v0, s26
	v_add_co_u32_e32 v32, vcc, s33, v32
	v_addc_co_u32_e32 v33, vcc, v33, v0, vcc
	v_cmp_lt_u64_e32 vcc, 3, v[32:33]
	s_or_b64 s[16:17], vcc, s[16:17]
	v_add_u32_e32 v38, v38, v49
	s_andn2_b64 exec, exec, s[16:17]
	s_cbranch_execz .LBB4_60
.LBB4_54:                               ;   Parent Loop BB4_15 Depth=1
                                        ; =>  This Loop Header: Depth=2
                                        ;       Child Loop BB4_57 Depth 3
                                        ;         Child Loop BB4_59 Depth 4
	s_and_saveexec_b64 s[18:19], s[10:11]
	s_cbranch_execz .LBB4_53
; %bb.55:                               ;   in Loop: Header=BB4_54 Depth=2
	s_mov_b64 s[20:21], 0
	v_mov_b32_e32 v39, v38
	v_pk_mov_b32 v[34:35], v[10:11], v[10:11] op_sel:[0,1]
	s_branch .LBB4_57
.LBB4_56:                               ;   in Loop: Header=BB4_57 Depth=3
	s_or_b64 exec, exec, s[22:23]
	v_add_co_u32_e32 v34, vcc, v34, v14
	v_addc_co_u32_e32 v35, vcc, v35, v15, vcc
	v_cmp_lt_u64_e32 vcc, 3, v[34:35]
	s_or_b64 s[20:21], vcc, s[20:21]
	v_add_u32_e32 v39, v39, v24
	s_andn2_b64 exec, exec, s[20:21]
	s_cbranch_execz .LBB4_53
.LBB4_57:                               ;   Parent Loop BB4_15 Depth=1
                                        ;     Parent Loop BB4_54 Depth=2
                                        ; =>    This Loop Header: Depth=3
                                        ;         Child Loop BB4_59 Depth 4
	s_and_saveexec_b64 s[22:23], s[12:13]
	s_cbranch_execz .LBB4_56
; %bb.58:                               ;   in Loop: Header=BB4_57 Depth=3
	v_lshlrev_b32_e32 v0, 5, v34
	v_lshl_add_u32 v4, v32, 7, v0
	ds_read_b128 v[0:3], v4 offset:512
	ds_read_b128 v[4:7], v4 offset:528
	s_mov_b64 s[24:25], 0
	v_mov_b32_e32 v40, v58
	v_mov_b32_e32 v41, v39
	v_pk_mov_b32 v[36:37], v[12:13], v[12:13] op_sel:[0,1]
.LBB4_59:                               ;   Parent Loop BB4_15 Depth=1
                                        ;     Parent Loop BB4_54 Depth=2
                                        ;       Parent Loop BB4_57 Depth=3
                                        ; =>      This Inner Loop Header: Depth=4
	ds_read_b128 v[62:65], v40
	ds_read_b128 v[66:69], v40 offset:16
	v_add_co_u32_e32 v36, vcc, v36, v16
	v_addc_co_u32_e32 v37, vcc, v37, v17, vcc
	s_waitcnt lgkmcnt(1)
	v_fma_f64 v[42:43], v[0:1], v[62:63], 0
	v_fmac_f64_e32 v[42:43], v[2:3], v[64:65]
	s_waitcnt lgkmcnt(0)
	v_fmac_f64_e32 v[42:43], v[4:5], v[66:67]
	v_cmp_lt_u64_e32 vcc, 2, v[36:37]
	v_fmac_f64_e32 v[42:43], v[6:7], v[68:69]
	v_add_u32_e32 v40, v40, v59
	s_or_b64 s[24:25], vcc, s[24:25]
	ds_write_b64 v41, v[42:43]
	v_add_u32_e32 v41, v41, v46
	s_andn2_b64 exec, exec, s[24:25]
	s_cbranch_execnz .LBB4_59
	s_branch .LBB4_56
.LBB4_60:                               ;   in Loop: Header=BB4_15 Depth=1
	s_or_b64 exec, exec, s[14:15]
	s_waitcnt lgkmcnt(0)
	; wave barrier
	s_waitcnt lgkmcnt(0)
	s_and_saveexec_b64 s[14:15], s[2:3]
	s_cbranch_execz .LBB4_69
; %bb.61:                               ;   in Loop: Header=BB4_15 Depth=1
	s_mov_b64 s[16:17], 0
	v_mov_b32_e32 v38, v47
	v_mov_b32_e32 v39, v60
	v_pk_mov_b32 v[32:33], v[8:9], v[8:9] op_sel:[0,1]
	s_branch .LBB4_63
.LBB4_62:                               ;   in Loop: Header=BB4_63 Depth=2
	s_or_b64 exec, exec, s[18:19]
	v_mov_b32_e32 v0, s26
	v_add_co_u32_e32 v32, vcc, s33, v32
	v_addc_co_u32_e32 v33, vcc, v33, v0, vcc
	v_cmp_lt_u64_e32 vcc, 3, v[32:33]
	v_add_u32_e32 v39, v39, v45
	s_or_b64 s[16:17], vcc, s[16:17]
	v_add_u32_e32 v38, v38, v49
	s_andn2_b64 exec, exec, s[16:17]
	s_cbranch_execz .LBB4_69
.LBB4_63:                               ;   Parent Loop BB4_15 Depth=1
                                        ; =>  This Loop Header: Depth=2
                                        ;       Child Loop BB4_66 Depth 3
                                        ;         Child Loop BB4_68 Depth 4
	s_and_saveexec_b64 s[18:19], s[4:5]
	s_cbranch_execz .LBB4_62
; %bb.64:                               ;   in Loop: Header=BB4_63 Depth=2
	s_mov_b64 s[20:21], 0
	v_mov_b32_e32 v40, v39
	v_pk_mov_b32 v[34:35], v[10:11], v[10:11] op_sel:[0,1]
	s_branch .LBB4_66
.LBB4_65:                               ;   in Loop: Header=BB4_66 Depth=3
	s_or_b64 exec, exec, s[22:23]
	v_add_co_u32_e32 v34, vcc, v34, v14
	v_addc_co_u32_e32 v35, vcc, v35, v15, vcc
	v_cmp_lt_u64_e32 vcc, 2, v[34:35]
	s_or_b64 s[20:21], vcc, s[20:21]
	v_add_u32_e32 v40, v40, v24
	s_andn2_b64 exec, exec, s[20:21]
	s_cbranch_execz .LBB4_62
.LBB4_66:                               ;   Parent Loop BB4_15 Depth=1
                                        ;     Parent Loop BB4_63 Depth=2
                                        ; =>    This Loop Header: Depth=3
                                        ;         Child Loop BB4_68 Depth 4
	s_and_saveexec_b64 s[22:23], s[12:13]
	s_cbranch_execz .LBB4_65
; %bb.67:                               ;   in Loop: Header=BB4_66 Depth=3
	v_lshlrev_b32_e32 v4, 5, v34
	ds_read_b128 v[0:3], v4 offset:1120
	ds_read_b128 v[4:7], v4 offset:1136
	s_mov_b64 s[24:25], 0
	v_mov_b32_e32 v41, 0
	v_pk_mov_b32 v[36:37], v[12:13], v[12:13] op_sel:[0,1]
.LBB4_68:                               ;   Parent Loop BB4_15 Depth=1
                                        ;     Parent Loop BB4_63 Depth=2
                                        ;       Parent Loop BB4_66 Depth=3
                                        ; =>      This Inner Loop Header: Depth=4
	v_add_u32_e32 v42, v38, v41
	ds_read2_b64 v[62:65], v42 offset1:3
	ds_read2_b64 v[66:69], v42 offset0:6 offset1:9
	v_add_co_u32_e32 v36, vcc, v36, v16
	v_addc_co_u32_e32 v37, vcc, v37, v17, vcc
	s_waitcnt lgkmcnt(1)
	v_fma_f64 v[42:43], v[0:1], v[62:63], 0
	v_fmac_f64_e32 v[42:43], v[2:3], v[64:65]
	v_cmp_lt_u64_e32 vcc, 2, v[36:37]
	s_waitcnt lgkmcnt(0)
	v_fmac_f64_e32 v[42:43], v[4:5], v[66:67]
	v_add_u32_e32 v70, v40, v41
	v_add_u32_e32 v41, v41, v46
	s_or_b64 s[24:25], vcc, s[24:25]
	v_fmac_f64_e32 v[42:43], v[6:7], v[68:69]
	ds_write_b64 v70, v[42:43]
	s_andn2_b64 exec, exec, s[24:25]
	s_cbranch_execnz .LBB4_68
	s_branch .LBB4_65
.LBB4_69:                               ;   in Loop: Header=BB4_15 Depth=1
	s_or_b64 exec, exec, s[14:15]
	s_waitcnt lgkmcnt(0)
	; wave barrier
	s_waitcnt lgkmcnt(0)
	s_and_saveexec_b64 s[14:15], s[0:1]
	s_cbranch_execz .LBB4_14
; %bb.70:                               ;   in Loop: Header=BB4_15 Depth=1
	s_mov_b64 s[16:17], 0
	v_pk_mov_b32 v[32:33], v[30:31], v[30:31] op_sel:[0,1]
	v_pk_mov_b32 v[34:35], v[8:9], v[8:9] op_sel:[0,1]
	s_branch .LBB4_72
.LBB4_71:                               ;   in Loop: Header=BB4_72 Depth=2
	s_or_b64 exec, exec, s[18:19]
	v_mov_b32_e32 v0, s26
	v_add_co_u32_e32 v34, vcc, s33, v34
	v_addc_co_u32_e32 v35, vcc, v35, v0, vcc
	v_cmp_lt_u64_e32 vcc, 2, v[34:35]
	v_mov_b32_e32 v0, s29
	s_or_b64 s[16:17], vcc, s[16:17]
	v_add_co_u32_e32 v32, vcc, s28, v32
	v_addc_co_u32_e32 v33, vcc, v33, v0, vcc
	s_andn2_b64 exec, exec, s[16:17]
	s_cbranch_execz .LBB4_14
.LBB4_72:                               ;   Parent Loop BB4_15 Depth=1
                                        ; =>  This Loop Header: Depth=2
                                        ;       Child Loop BB4_75 Depth 3
                                        ;         Child Loop BB4_77 Depth 4
	s_and_saveexec_b64 s[18:19], s[4:5]
	s_cbranch_execz .LBB4_71
; %bb.73:                               ;   in Loop: Header=BB4_72 Depth=2
	v_lshl_add_u32 v62, v34, 5, v57
	s_mov_b64 s[20:21], 0
	v_mov_b32_e32 v63, v61
	v_pk_mov_b32 v[36:37], v[32:33], v[32:33] op_sel:[0,1]
	v_pk_mov_b32 v[38:39], v[10:11], v[10:11] op_sel:[0,1]
	s_branch .LBB4_75
.LBB4_74:                               ;   in Loop: Header=BB4_75 Depth=3
	s_or_b64 exec, exec, s[22:23]
	v_add_co_u32_e32 v38, vcc, v38, v14
	v_addc_co_u32_e32 v39, vcc, v39, v15, vcc
	v_add_co_u32_e32 v36, vcc, v36, v24
	v_addc_co_u32_e32 v37, vcc, v37, v25, vcc
	v_cmp_lt_u64_e32 vcc, 2, v[38:39]
	s_or_b64 s[20:21], vcc, s[20:21]
	v_add_u32_e32 v63, v63, v24
	s_andn2_b64 exec, exec, s[20:21]
	s_cbranch_execz .LBB4_71
.LBB4_75:                               ;   Parent Loop BB4_15 Depth=1
                                        ;     Parent Loop BB4_72 Depth=2
                                        ; =>    This Loop Header: Depth=3
                                        ;         Child Loop BB4_77 Depth 4
	s_and_saveexec_b64 s[22:23], s[12:13]
	s_cbranch_execz .LBB4_74
; %bb.76:                               ;   in Loop: Header=BB4_75 Depth=3
	ds_read_b128 v[0:3], v62
	ds_read_b128 v[4:7], v62 offset:16
	s_mov_b64 s[24:25], 0
	v_mov_b32_e32 v64, v63
	v_pk_mov_b32 v[40:41], v[36:37], v[36:37] op_sel:[0,1]
	v_pk_mov_b32 v[42:43], v[12:13], v[12:13] op_sel:[0,1]
.LBB4_77:                               ;   Parent Loop BB4_15 Depth=1
                                        ;     Parent Loop BB4_72 Depth=2
                                        ;       Parent Loop BB4_75 Depth=3
                                        ; =>      This Inner Loop Header: Depth=4
	ds_read2_b64 v[66:69], v64 offset1:9
	v_add_co_u32_e32 v42, vcc, v42, v16
	v_addc_co_u32_e32 v43, vcc, v43, v17, vcc
	s_waitcnt lgkmcnt(0)
	v_fma_f64 v[70:71], v[66:67], v[0:1], 0
	v_fmac_f64_e32 v[70:71], v[68:69], v[2:3]
	ds_read2_b64 v[66:69], v64 offset0:18 offset1:27
	v_add_u32_e32 v64, v64, v46
	s_waitcnt lgkmcnt(0)
	v_fmac_f64_e32 v[70:71], v[66:67], v[4:5]
	v_fmac_f64_e32 v[70:71], v[68:69], v[6:7]
	global_store_dwordx2 v[40:41], v[70:71], off
	v_add_co_u32_e32 v40, vcc, v40, v18
	v_addc_co_u32_e32 v41, vcc, v41, v19, vcc
	v_cmp_lt_u64_e32 vcc, 2, v[42:43]
	s_or_b64 s[24:25], vcc, s[24:25]
	s_andn2_b64 exec, exec, s[24:25]
	s_cbranch_execnz .LBB4_77
	s_branch .LBB4_74
.LBB4_78:
	s_endpgm
	.section	.rodata,"a",@progbits
	.p2align	6, 0x0
	.amdhsa_kernel _ZN4RAJA34launch_new_reduce_global_fcn_fixedIZN8rajaperf4apps11MASSVEC3DPA17runHipVariantImplILm64ELm2EEEvNS1_9VariantIDEEUlNS_14LaunchContextTINS_3hip33LaunchContextIndicesAndDimsPolicyINS7_14IndicesAndDimsILb0ELb0ELb1ELb0EEEEEEEE_Li64ENS_4expt15ForallParamPackIJEEEEEvT_T1_
		.amdhsa_group_segment_fixed_size 1216
		.amdhsa_private_segment_fixed_size 0
		.amdhsa_kernarg_size 304
		.amdhsa_user_sgpr_count 6
		.amdhsa_user_sgpr_private_segment_buffer 1
		.amdhsa_user_sgpr_dispatch_ptr 0
		.amdhsa_user_sgpr_queue_ptr 0
		.amdhsa_user_sgpr_kernarg_segment_ptr 1
		.amdhsa_user_sgpr_dispatch_id 0
		.amdhsa_user_sgpr_flat_scratch_init 0
		.amdhsa_user_sgpr_kernarg_preload_length 0
		.amdhsa_user_sgpr_kernarg_preload_offset 0
		.amdhsa_user_sgpr_private_segment_size 0
		.amdhsa_uses_dynamic_stack 0
		.amdhsa_system_sgpr_private_segment_wavefront_offset 0
		.amdhsa_system_sgpr_workgroup_id_x 1
		.amdhsa_system_sgpr_workgroup_id_y 0
		.amdhsa_system_sgpr_workgroup_id_z 0
		.amdhsa_system_sgpr_workgroup_info 0
		.amdhsa_system_vgpr_workitem_id 2
		.amdhsa_next_free_vgpr 72
		.amdhsa_next_free_sgpr 38
		.amdhsa_accum_offset 72
		.amdhsa_reserve_vcc 1
		.amdhsa_reserve_flat_scratch 0
		.amdhsa_float_round_mode_32 0
		.amdhsa_float_round_mode_16_64 0
		.amdhsa_float_denorm_mode_32 3
		.amdhsa_float_denorm_mode_16_64 3
		.amdhsa_dx10_clamp 1
		.amdhsa_ieee_mode 1
		.amdhsa_fp16_overflow 0
		.amdhsa_tg_split 0
		.amdhsa_exception_fp_ieee_invalid_op 0
		.amdhsa_exception_fp_denorm_src 0
		.amdhsa_exception_fp_ieee_div_zero 0
		.amdhsa_exception_fp_ieee_overflow 0
		.amdhsa_exception_fp_ieee_underflow 0
		.amdhsa_exception_fp_ieee_inexact 0
		.amdhsa_exception_int_div_zero 0
	.end_amdhsa_kernel
	.section	.text._ZN4RAJA34launch_new_reduce_global_fcn_fixedIZN8rajaperf4apps11MASSVEC3DPA17runHipVariantImplILm64ELm2EEEvNS1_9VariantIDEEUlNS_14LaunchContextTINS_3hip33LaunchContextIndicesAndDimsPolicyINS7_14IndicesAndDimsILb0ELb0ELb1ELb0EEEEEEEE_Li64ENS_4expt15ForallParamPackIJEEEEEvT_T1_,"axG",@progbits,_ZN4RAJA34launch_new_reduce_global_fcn_fixedIZN8rajaperf4apps11MASSVEC3DPA17runHipVariantImplILm64ELm2EEEvNS1_9VariantIDEEUlNS_14LaunchContextTINS_3hip33LaunchContextIndicesAndDimsPolicyINS7_14IndicesAndDimsILb0ELb0ELb1ELb0EEEEEEEE_Li64ENS_4expt15ForallParamPackIJEEEEEvT_T1_,comdat
.Lfunc_end4:
	.size	_ZN4RAJA34launch_new_reduce_global_fcn_fixedIZN8rajaperf4apps11MASSVEC3DPA17runHipVariantImplILm64ELm2EEEvNS1_9VariantIDEEUlNS_14LaunchContextTINS_3hip33LaunchContextIndicesAndDimsPolicyINS7_14IndicesAndDimsILb0ELb0ELb1ELb0EEEEEEEE_Li64ENS_4expt15ForallParamPackIJEEEEEvT_T1_, .Lfunc_end4-_ZN4RAJA34launch_new_reduce_global_fcn_fixedIZN8rajaperf4apps11MASSVEC3DPA17runHipVariantImplILm64ELm2EEEvNS1_9VariantIDEEUlNS_14LaunchContextTINS_3hip33LaunchContextIndicesAndDimsPolicyINS7_14IndicesAndDimsILb0ELb0ELb1ELb0EEEEEEEE_Li64ENS_4expt15ForallParamPackIJEEEEEvT_T1_
                                        ; -- End function
	.section	.AMDGPU.csdata,"",@progbits
; Kernel info:
; codeLenInByte = 3152
; NumSgprs: 42
; NumVgprs: 72
; NumAgprs: 0
; TotalNumVgprs: 72
; ScratchSize: 0
; MemoryBound: 0
; FloatMode: 240
; IeeeMode: 1
; LDSByteSize: 1216 bytes/workgroup (compile time only)
; SGPRBlocks: 5
; VGPRBlocks: 8
; NumSGPRsForWavesPerEU: 42
; NumVGPRsForWavesPerEU: 72
; AccumOffset: 72
; Occupancy: 7
; WaveLimiterHint : 0
; COMPUTE_PGM_RSRC2:SCRATCH_EN: 0
; COMPUTE_PGM_RSRC2:USER_SGPR: 6
; COMPUTE_PGM_RSRC2:TRAP_HANDLER: 0
; COMPUTE_PGM_RSRC2:TGID_X_EN: 1
; COMPUTE_PGM_RSRC2:TGID_Y_EN: 0
; COMPUTE_PGM_RSRC2:TGID_Z_EN: 0
; COMPUTE_PGM_RSRC2:TIDIG_COMP_CNT: 2
; COMPUTE_PGM_RSRC3_GFX90A:ACCUM_OFFSET: 17
; COMPUTE_PGM_RSRC3_GFX90A:TG_SPLIT: 0
	.text
	.p2alignl 6, 3212836864
	.fill 256, 4, 3212836864
	.type	__hip_cuid_32ebb7a5848cbe62,@object ; @__hip_cuid_32ebb7a5848cbe62
	.section	.bss,"aw",@nobits
	.globl	__hip_cuid_32ebb7a5848cbe62
__hip_cuid_32ebb7a5848cbe62:
	.byte	0                               ; 0x0
	.size	__hip_cuid_32ebb7a5848cbe62, 1

	.ident	"AMD clang version 19.0.0git (https://github.com/RadeonOpenCompute/llvm-project roc-6.4.0 25133 c7fe45cf4b819c5991fe208aaa96edf142730f1d)"
	.section	".note.GNU-stack","",@progbits
	.addrsig
	.addrsig_sym __hip_cuid_32ebb7a5848cbe62
	.amdgpu_metadata
---
amdhsa.kernels:
  - .agpr_count:     0
    .args:
      - .address_space:  global
        .offset:         0
        .size:           8
        .value_kind:     global_buffer
      - .address_space:  global
        .offset:         8
        .size:           8
        .value_kind:     global_buffer
      - .address_space:  global
        .offset:         16
        .size:           8
        .value_kind:     global_buffer
      - .address_space:  global
        .offset:         24
        .size:           8
        .value_kind:     global_buffer
      - .offset:         32
        .size:           4
        .value_kind:     hidden_block_count_x
      - .offset:         36
        .size:           4
        .value_kind:     hidden_block_count_y
      - .offset:         40
        .size:           4
        .value_kind:     hidden_block_count_z
      - .offset:         44
        .size:           2
        .value_kind:     hidden_group_size_x
      - .offset:         46
        .size:           2
        .value_kind:     hidden_group_size_y
      - .offset:         48
        .size:           2
        .value_kind:     hidden_group_size_z
      - .offset:         50
        .size:           2
        .value_kind:     hidden_remainder_x
      - .offset:         52
        .size:           2
        .value_kind:     hidden_remainder_y
      - .offset:         54
        .size:           2
        .value_kind:     hidden_remainder_z
      - .offset:         72
        .size:           8
        .value_kind:     hidden_global_offset_x
      - .offset:         80
        .size:           8
        .value_kind:     hidden_global_offset_y
      - .offset:         88
        .size:           8
        .value_kind:     hidden_global_offset_z
      - .offset:         96
        .size:           2
        .value_kind:     hidden_grid_dims
    .group_segment_fixed_size: 1216
    .kernarg_segment_align: 8
    .kernarg_segment_size: 288
    .language:       OpenCL C
    .language_version:
      - 2
      - 0
    .max_flat_workgroup_size: 64
    .name:           _ZN8rajaperf4apps15MassVec3DPALoopILm64EEEvPdS2_S2_S2_
    .private_segment_fixed_size: 0
    .sgpr_count:     49
    .sgpr_spill_count: 0
    .symbol:         _ZN8rajaperf4apps15MassVec3DPALoopILm64EEEvPdS2_S2_S2_.kd
    .uniform_work_group_size: 1
    .uses_dynamic_stack: false
    .vgpr_count:     59
    .vgpr_spill_count: 0
    .wavefront_size: 64
  - .agpr_count:     0
    .args:
      - .offset:         0
        .size:           40
        .value_kind:     by_value
      - .offset:         40
        .size:           1
        .value_kind:     by_value
      - .offset:         48
        .size:           4
        .value_kind:     hidden_block_count_x
      - .offset:         52
        .size:           4
        .value_kind:     hidden_block_count_y
      - .offset:         56
        .size:           4
        .value_kind:     hidden_block_count_z
      - .offset:         60
        .size:           2
        .value_kind:     hidden_group_size_x
      - .offset:         62
        .size:           2
        .value_kind:     hidden_group_size_y
      - .offset:         64
        .size:           2
        .value_kind:     hidden_group_size_z
      - .offset:         66
        .size:           2
        .value_kind:     hidden_remainder_x
      - .offset:         68
        .size:           2
        .value_kind:     hidden_remainder_y
      - .offset:         70
        .size:           2
        .value_kind:     hidden_remainder_z
      - .offset:         88
        .size:           8
        .value_kind:     hidden_global_offset_x
      - .offset:         96
        .size:           8
        .value_kind:     hidden_global_offset_y
      - .offset:         104
        .size:           8
        .value_kind:     hidden_global_offset_z
      - .offset:         112
        .size:           2
        .value_kind:     hidden_grid_dims
    .group_segment_fixed_size: 1216
    .kernarg_segment_align: 8
    .kernarg_segment_size: 304
    .language:       OpenCL C
    .language_version:
      - 2
      - 0
    .max_flat_workgroup_size: 64
    .name:           _ZN4RAJA34launch_new_reduce_global_fcn_fixedIZN8rajaperf4apps11MASSVEC3DPA17runHipVariantImplILm64ELm0EEEvNS1_9VariantIDEEUlNS_14LaunchContextTINS_3hip33LaunchContextIndicesAndDimsPolicyINS7_14IndicesAndDimsILb0ELb0ELb0ELb0EEEEEEEE_Li64ENS_4expt15ForallParamPackIJEEEEEvT_T1_
    .private_segment_fixed_size: 0
    .sgpr_count:     45
    .sgpr_spill_count: 0
    .symbol:         _ZN4RAJA34launch_new_reduce_global_fcn_fixedIZN8rajaperf4apps11MASSVEC3DPA17runHipVariantImplILm64ELm0EEEvNS1_9VariantIDEEUlNS_14LaunchContextTINS_3hip33LaunchContextIndicesAndDimsPolicyINS7_14IndicesAndDimsILb0ELb0ELb0ELb0EEEEEEEE_Li64ENS_4expt15ForallParamPackIJEEEEEvT_T1_.kd
    .uniform_work_group_size: 1
    .uses_dynamic_stack: false
    .vgpr_count:     63
    .vgpr_spill_count: 0
    .wavefront_size: 64
  - .agpr_count:     0
    .args:
      - .address_space:  global
        .offset:         0
        .size:           8
        .value_kind:     global_buffer
      - .address_space:  global
        .offset:         8
        .size:           8
        .value_kind:     global_buffer
      - .address_space:  global
        .offset:         16
        .size:           8
        .value_kind:     global_buffer
      - .address_space:  global
        .offset:         24
        .size:           8
        .value_kind:     global_buffer
    .group_segment_fixed_size: 1216
    .kernarg_segment_align: 8
    .kernarg_segment_size: 32
    .language:       OpenCL C
    .language_version:
      - 2
      - 0
    .max_flat_workgroup_size: 64
    .name:           _ZN8rajaperf4apps17MassVec3DPADirectILm64EEEvPdS2_S2_S2_
    .private_segment_fixed_size: 0
    .sgpr_count:     23
    .sgpr_spill_count: 0
    .symbol:         _ZN8rajaperf4apps17MassVec3DPADirectILm64EEEvPdS2_S2_S2_.kd
    .uniform_work_group_size: 1
    .uses_dynamic_stack: false
    .vgpr_count:     40
    .vgpr_spill_count: 0
    .wavefront_size: 64
  - .agpr_count:     0
    .args:
      - .offset:         0
        .size:           40
        .value_kind:     by_value
      - .offset:         40
        .size:           1
        .value_kind:     by_value
    .group_segment_fixed_size: 1216
    .kernarg_segment_align: 8
    .kernarg_segment_size: 44
    .language:       OpenCL C
    .language_version:
      - 2
      - 0
    .max_flat_workgroup_size: 64
    .name:           _ZN4RAJA34launch_new_reduce_global_fcn_fixedIZN8rajaperf4apps11MASSVEC3DPA17runHipVariantImplILm64ELm1EEEvNS1_9VariantIDEEUlNS_14LaunchContextTINS_3hip33LaunchContextIndicesAndDimsPolicyINS7_14IndicesAndDimsILb0ELb0ELb0ELb0EEEEEEEE_Li64ENS_4expt15ForallParamPackIJEEEEEvT_T1_
    .private_segment_fixed_size: 0
    .sgpr_count:     30
    .sgpr_spill_count: 0
    .symbol:         _ZN4RAJA34launch_new_reduce_global_fcn_fixedIZN8rajaperf4apps11MASSVEC3DPA17runHipVariantImplILm64ELm1EEEvNS1_9VariantIDEEUlNS_14LaunchContextTINS_3hip33LaunchContextIndicesAndDimsPolicyINS7_14IndicesAndDimsILb0ELb0ELb0ELb0EEEEEEEE_Li64ENS_4expt15ForallParamPackIJEEEEEvT_T1_.kd
    .uniform_work_group_size: 1
    .uses_dynamic_stack: false
    .vgpr_count:     43
    .vgpr_spill_count: 0
    .wavefront_size: 64
  - .agpr_count:     0
    .args:
      - .offset:         0
        .size:           40
        .value_kind:     by_value
      - .offset:         40
        .size:           1
        .value_kind:     by_value
      - .offset:         48
        .size:           4
        .value_kind:     hidden_block_count_x
      - .offset:         52
        .size:           4
        .value_kind:     hidden_block_count_y
      - .offset:         56
        .size:           4
        .value_kind:     hidden_block_count_z
      - .offset:         60
        .size:           2
        .value_kind:     hidden_group_size_x
      - .offset:         62
        .size:           2
        .value_kind:     hidden_group_size_y
      - .offset:         64
        .size:           2
        .value_kind:     hidden_group_size_z
      - .offset:         66
        .size:           2
        .value_kind:     hidden_remainder_x
      - .offset:         68
        .size:           2
        .value_kind:     hidden_remainder_y
      - .offset:         70
        .size:           2
        .value_kind:     hidden_remainder_z
      - .offset:         88
        .size:           8
        .value_kind:     hidden_global_offset_x
      - .offset:         96
        .size:           8
        .value_kind:     hidden_global_offset_y
      - .offset:         104
        .size:           8
        .value_kind:     hidden_global_offset_z
      - .offset:         112
        .size:           2
        .value_kind:     hidden_grid_dims
    .group_segment_fixed_size: 1216
    .kernarg_segment_align: 8
    .kernarg_segment_size: 304
    .language:       OpenCL C
    .language_version:
      - 2
      - 0
    .max_flat_workgroup_size: 64
    .name:           _ZN4RAJA34launch_new_reduce_global_fcn_fixedIZN8rajaperf4apps11MASSVEC3DPA17runHipVariantImplILm64ELm2EEEvNS1_9VariantIDEEUlNS_14LaunchContextTINS_3hip33LaunchContextIndicesAndDimsPolicyINS7_14IndicesAndDimsILb0ELb0ELb1ELb0EEEEEEEE_Li64ENS_4expt15ForallParamPackIJEEEEEvT_T1_
    .private_segment_fixed_size: 0
    .sgpr_count:     42
    .sgpr_spill_count: 0
    .symbol:         _ZN4RAJA34launch_new_reduce_global_fcn_fixedIZN8rajaperf4apps11MASSVEC3DPA17runHipVariantImplILm64ELm2EEEvNS1_9VariantIDEEUlNS_14LaunchContextTINS_3hip33LaunchContextIndicesAndDimsPolicyINS7_14IndicesAndDimsILb0ELb0ELb1ELb0EEEEEEEE_Li64ENS_4expt15ForallParamPackIJEEEEEvT_T1_.kd
    .uniform_work_group_size: 1
    .uses_dynamic_stack: false
    .vgpr_count:     72
    .vgpr_spill_count: 0
    .wavefront_size: 64
amdhsa.target:   amdgcn-amd-amdhsa--gfx90a
amdhsa.version:
  - 1
  - 2
...

	.end_amdgpu_metadata
